;; amdgpu-corpus repo=ROCm/rocFFT kind=compiled arch=gfx1030 opt=O3
	.text
	.amdgcn_target "amdgcn-amd-amdhsa--gfx1030"
	.amdhsa_code_object_version 6
	.protected	fft_rtc_back_len2700_factors_3_10_10_3_3_wgs_90_tpt_90_halfLds_half_ip_CI_unitstride_sbrr_R2C_dirReg ; -- Begin function fft_rtc_back_len2700_factors_3_10_10_3_3_wgs_90_tpt_90_halfLds_half_ip_CI_unitstride_sbrr_R2C_dirReg
	.globl	fft_rtc_back_len2700_factors_3_10_10_3_3_wgs_90_tpt_90_halfLds_half_ip_CI_unitstride_sbrr_R2C_dirReg
	.p2align	8
	.type	fft_rtc_back_len2700_factors_3_10_10_3_3_wgs_90_tpt_90_halfLds_half_ip_CI_unitstride_sbrr_R2C_dirReg,@function
fft_rtc_back_len2700_factors_3_10_10_3_3_wgs_90_tpt_90_halfLds_half_ip_CI_unitstride_sbrr_R2C_dirReg: ; @fft_rtc_back_len2700_factors_3_10_10_3_3_wgs_90_tpt_90_halfLds_half_ip_CI_unitstride_sbrr_R2C_dirReg
; %bb.0:
	s_clause 0x2
	s_load_dwordx4 s[8:11], s[4:5], 0x0
	s_load_dwordx2 s[2:3], s[4:5], 0x50
	s_load_dwordx2 s[12:13], s[4:5], 0x18
	v_mul_u32_u24_e32 v1, 0x2d9, v0
	v_mov_b32_e32 v3, 0
	v_add_nc_u32_sdwa v5, s6, v1 dst_sel:DWORD dst_unused:UNUSED_PAD src0_sel:DWORD src1_sel:WORD_1
	v_mov_b32_e32 v1, 0
	v_mov_b32_e32 v6, v3
	v_mov_b32_e32 v2, 0
	s_waitcnt lgkmcnt(0)
	v_cmp_lt_u64_e64 s0, s[10:11], 2
	s_and_b32 vcc_lo, exec_lo, s0
	s_cbranch_vccnz .LBB0_8
; %bb.1:
	s_load_dwordx2 s[0:1], s[4:5], 0x10
	v_mov_b32_e32 v1, 0
	s_add_u32 s6, s12, 8
	v_mov_b32_e32 v2, 0
	s_addc_u32 s7, s13, 0
	s_mov_b64 s[16:17], 1
	s_waitcnt lgkmcnt(0)
	s_add_u32 s14, s0, 8
	s_addc_u32 s15, s1, 0
.LBB0_2:                                ; =>This Inner Loop Header: Depth=1
	s_load_dwordx2 s[18:19], s[14:15], 0x0
                                        ; implicit-def: $vgpr7_vgpr8
	s_mov_b32 s0, exec_lo
	s_waitcnt lgkmcnt(0)
	v_or_b32_e32 v4, s19, v6
	v_cmpx_ne_u64_e32 0, v[3:4]
	s_xor_b32 s1, exec_lo, s0
	s_cbranch_execz .LBB0_4
; %bb.3:                                ;   in Loop: Header=BB0_2 Depth=1
	v_cvt_f32_u32_e32 v4, s18
	v_cvt_f32_u32_e32 v7, s19
	s_sub_u32 s0, 0, s18
	s_subb_u32 s20, 0, s19
	v_fmac_f32_e32 v4, 0x4f800000, v7
	v_rcp_f32_e32 v4, v4
	v_mul_f32_e32 v4, 0x5f7ffffc, v4
	v_mul_f32_e32 v7, 0x2f800000, v4
	v_trunc_f32_e32 v7, v7
	v_fmac_f32_e32 v4, 0xcf800000, v7
	v_cvt_u32_f32_e32 v7, v7
	v_cvt_u32_f32_e32 v4, v4
	v_mul_lo_u32 v8, s0, v7
	v_mul_hi_u32 v9, s0, v4
	v_mul_lo_u32 v10, s20, v4
	v_add_nc_u32_e32 v8, v9, v8
	v_mul_lo_u32 v9, s0, v4
	v_add_nc_u32_e32 v8, v8, v10
	v_mul_hi_u32 v10, v4, v9
	v_mul_lo_u32 v11, v4, v8
	v_mul_hi_u32 v12, v4, v8
	v_mul_hi_u32 v13, v7, v9
	v_mul_lo_u32 v9, v7, v9
	v_mul_hi_u32 v14, v7, v8
	v_mul_lo_u32 v8, v7, v8
	v_add_co_u32 v10, vcc_lo, v10, v11
	v_add_co_ci_u32_e32 v11, vcc_lo, 0, v12, vcc_lo
	v_add_co_u32 v9, vcc_lo, v10, v9
	v_add_co_ci_u32_e32 v9, vcc_lo, v11, v13, vcc_lo
	v_add_co_ci_u32_e32 v10, vcc_lo, 0, v14, vcc_lo
	v_add_co_u32 v8, vcc_lo, v9, v8
	v_add_co_ci_u32_e32 v9, vcc_lo, 0, v10, vcc_lo
	v_add_co_u32 v4, vcc_lo, v4, v8
	v_add_co_ci_u32_e32 v7, vcc_lo, v7, v9, vcc_lo
	v_mul_hi_u32 v8, s0, v4
	v_mul_lo_u32 v10, s20, v4
	v_mul_lo_u32 v9, s0, v7
	v_add_nc_u32_e32 v8, v8, v9
	v_mul_lo_u32 v9, s0, v4
	v_add_nc_u32_e32 v8, v8, v10
	v_mul_hi_u32 v10, v4, v9
	v_mul_lo_u32 v11, v4, v8
	v_mul_hi_u32 v12, v4, v8
	v_mul_hi_u32 v13, v7, v9
	v_mul_lo_u32 v9, v7, v9
	v_mul_hi_u32 v14, v7, v8
	v_mul_lo_u32 v8, v7, v8
	v_add_co_u32 v10, vcc_lo, v10, v11
	v_add_co_ci_u32_e32 v11, vcc_lo, 0, v12, vcc_lo
	v_add_co_u32 v9, vcc_lo, v10, v9
	v_add_co_ci_u32_e32 v9, vcc_lo, v11, v13, vcc_lo
	v_add_co_ci_u32_e32 v10, vcc_lo, 0, v14, vcc_lo
	v_add_co_u32 v8, vcc_lo, v9, v8
	v_add_co_ci_u32_e32 v9, vcc_lo, 0, v10, vcc_lo
	v_add_co_u32 v4, vcc_lo, v4, v8
	v_add_co_ci_u32_e32 v11, vcc_lo, v7, v9, vcc_lo
	v_mul_hi_u32 v13, v5, v4
	v_mad_u64_u32 v[9:10], null, v6, v4, 0
	v_mad_u64_u32 v[7:8], null, v5, v11, 0
	;; [unrolled: 1-line block ×3, first 2 shown]
	v_add_co_u32 v4, vcc_lo, v13, v7
	v_add_co_ci_u32_e32 v7, vcc_lo, 0, v8, vcc_lo
	v_add_co_u32 v4, vcc_lo, v4, v9
	v_add_co_ci_u32_e32 v4, vcc_lo, v7, v10, vcc_lo
	v_add_co_ci_u32_e32 v7, vcc_lo, 0, v12, vcc_lo
	v_add_co_u32 v4, vcc_lo, v4, v11
	v_add_co_ci_u32_e32 v9, vcc_lo, 0, v7, vcc_lo
	v_mul_lo_u32 v10, s19, v4
	v_mad_u64_u32 v[7:8], null, s18, v4, 0
	v_mul_lo_u32 v11, s18, v9
	v_sub_co_u32 v7, vcc_lo, v5, v7
	v_add3_u32 v8, v8, v11, v10
	v_sub_nc_u32_e32 v10, v6, v8
	v_subrev_co_ci_u32_e64 v10, s0, s19, v10, vcc_lo
	v_add_co_u32 v11, s0, v4, 2
	v_add_co_ci_u32_e64 v12, s0, 0, v9, s0
	v_sub_co_u32 v13, s0, v7, s18
	v_sub_co_ci_u32_e32 v8, vcc_lo, v6, v8, vcc_lo
	v_subrev_co_ci_u32_e64 v10, s0, 0, v10, s0
	v_cmp_le_u32_e32 vcc_lo, s18, v13
	v_cmp_eq_u32_e64 s0, s19, v8
	v_cndmask_b32_e64 v13, 0, -1, vcc_lo
	v_cmp_le_u32_e32 vcc_lo, s19, v10
	v_cndmask_b32_e64 v14, 0, -1, vcc_lo
	v_cmp_le_u32_e32 vcc_lo, s18, v7
	;; [unrolled: 2-line block ×3, first 2 shown]
	v_cndmask_b32_e64 v15, 0, -1, vcc_lo
	v_cmp_eq_u32_e32 vcc_lo, s19, v10
	v_cndmask_b32_e64 v7, v15, v7, s0
	v_cndmask_b32_e32 v10, v14, v13, vcc_lo
	v_add_co_u32 v13, vcc_lo, v4, 1
	v_add_co_ci_u32_e32 v14, vcc_lo, 0, v9, vcc_lo
	v_cmp_ne_u32_e32 vcc_lo, 0, v10
	v_cndmask_b32_e32 v8, v14, v12, vcc_lo
	v_cndmask_b32_e32 v10, v13, v11, vcc_lo
	v_cmp_ne_u32_e32 vcc_lo, 0, v7
	v_cndmask_b32_e32 v8, v9, v8, vcc_lo
	v_cndmask_b32_e32 v7, v4, v10, vcc_lo
.LBB0_4:                                ;   in Loop: Header=BB0_2 Depth=1
	s_andn2_saveexec_b32 s0, s1
	s_cbranch_execz .LBB0_6
; %bb.5:                                ;   in Loop: Header=BB0_2 Depth=1
	v_cvt_f32_u32_e32 v4, s18
	s_sub_i32 s1, 0, s18
	v_rcp_iflag_f32_e32 v4, v4
	v_mul_f32_e32 v4, 0x4f7ffffe, v4
	v_cvt_u32_f32_e32 v4, v4
	v_mul_lo_u32 v7, s1, v4
	v_mul_hi_u32 v7, v4, v7
	v_add_nc_u32_e32 v4, v4, v7
	v_mul_hi_u32 v4, v5, v4
	v_mul_lo_u32 v7, v4, s18
	v_add_nc_u32_e32 v8, 1, v4
	v_sub_nc_u32_e32 v7, v5, v7
	v_subrev_nc_u32_e32 v9, s18, v7
	v_cmp_le_u32_e32 vcc_lo, s18, v7
	v_cndmask_b32_e32 v7, v7, v9, vcc_lo
	v_cndmask_b32_e32 v4, v4, v8, vcc_lo
	v_cmp_le_u32_e32 vcc_lo, s18, v7
	v_add_nc_u32_e32 v8, 1, v4
	v_cndmask_b32_e32 v7, v4, v8, vcc_lo
	v_mov_b32_e32 v8, v3
.LBB0_6:                                ;   in Loop: Header=BB0_2 Depth=1
	s_or_b32 exec_lo, exec_lo, s0
	s_load_dwordx2 s[0:1], s[6:7], 0x0
	v_mul_lo_u32 v4, v8, s18
	v_mul_lo_u32 v11, v7, s19
	v_mad_u64_u32 v[9:10], null, v7, s18, 0
	s_add_u32 s16, s16, 1
	s_addc_u32 s17, s17, 0
	s_add_u32 s6, s6, 8
	s_addc_u32 s7, s7, 0
	;; [unrolled: 2-line block ×3, first 2 shown]
	v_add3_u32 v4, v10, v11, v4
	v_sub_co_u32 v5, vcc_lo, v5, v9
	v_sub_co_ci_u32_e32 v4, vcc_lo, v6, v4, vcc_lo
	s_waitcnt lgkmcnt(0)
	v_mul_lo_u32 v6, s1, v5
	v_mul_lo_u32 v4, s0, v4
	v_mad_u64_u32 v[1:2], null, s0, v5, v[1:2]
	v_cmp_ge_u64_e64 s0, s[16:17], s[10:11]
	s_and_b32 vcc_lo, exec_lo, s0
	v_add3_u32 v2, v6, v2, v4
	s_cbranch_vccnz .LBB0_9
; %bb.7:                                ;   in Loop: Header=BB0_2 Depth=1
	v_mov_b32_e32 v5, v7
	v_mov_b32_e32 v6, v8
	s_branch .LBB0_2
.LBB0_8:
	v_mov_b32_e32 v8, v6
	v_mov_b32_e32 v7, v5
.LBB0_9:
	s_lshl_b64 s[0:1], s[10:11], 3
	v_mul_hi_u32 v3, 0x2d82d83, v0
	s_add_u32 s0, s12, s0
	s_addc_u32 s1, s13, s1
	s_load_dwordx2 s[4:5], s[4:5], 0x20
	s_load_dwordx2 s[0:1], s[0:1], 0x0
	v_mul_u32_u24_e32 v3, 0x5a, v3
	v_sub_nc_u32_e32 v24, v0, v3
	v_add_nc_u32_e32 v26, 0x5a, v24
	v_add_nc_u32_e32 v38, 0xb4, v24
	;; [unrolled: 1-line block ×5, first 2 shown]
	s_waitcnt lgkmcnt(0)
	v_cmp_gt_u64_e32 vcc_lo, s[4:5], v[7:8]
	v_mul_lo_u32 v3, s0, v8
	v_mul_lo_u32 v4, s1, v7
	v_mad_u64_u32 v[0:1], null, s0, v7, v[1:2]
	v_cmp_le_u64_e64 s0, s[4:5], v[7:8]
	v_add_nc_u32_e32 v34, 0x21c, v24
	v_add_nc_u32_e32 v31, 0x276, v24
	;; [unrolled: 1-line block ×4, first 2 shown]
	v_add3_u32 v1, v4, v1, v3
	s_and_saveexec_b32 s1, s0
	s_xor_b32 s0, exec_lo, s1
; %bb.10:
	v_add_nc_u32_e32 v26, 0x5a, v24
	v_add_nc_u32_e32 v38, 0xb4, v24
	;; [unrolled: 1-line block ×9, first 2 shown]
; %bb.11:
	s_or_saveexec_b32 s1, s0
	v_lshlrev_b64 v[28:29], 2, v[0:1]
	s_xor_b32 exec_lo, exec_lo, s1
	s_cbranch_execz .LBB0_13
; %bb.12:
	v_mov_b32_e32 v25, 0
	v_add_co_u32 v2, s0, s2, v28
	v_add_co_ci_u32_e64 v3, s0, s3, v29, s0
	v_lshlrev_b64 v[0:1], 2, v[24:25]
	v_add_co_u32 v0, s0, v2, v0
	v_add_co_ci_u32_e64 v1, s0, v3, v1, s0
	v_add_co_u32 v2, s0, 0x800, v0
	v_add_co_ci_u32_e64 v3, s0, 0, v1, s0
	;; [unrolled: 2-line block ×3, first 2 shown]
	s_clause 0xf
	global_load_dword v8, v[0:1], off
	global_load_dword v9, v[0:1], off offset:360
	global_load_dword v10, v[0:1], off offset:720
	;; [unrolled: 1-line block ×15, first 2 shown]
	v_add_co_u32 v2, s0, 0x1800, v0
	v_add_co_ci_u32_e64 v3, s0, 0, v1, s0
	v_add_co_u32 v6, s0, 0x2000, v0
	v_add_co_ci_u32_e64 v7, s0, 0, v1, s0
	v_add_co_u32 v0, s0, 0x2800, v0
	s_clause 0x7
	global_load_dword v25, v[4:5], off offset:1664
	global_load_dword v4, v[4:5], off offset:2024
	;; [unrolled: 1-line block ×8, first 2 shown]
	v_add_co_ci_u32_e64 v1, s0, 0, v1, s0
	s_clause 0x5
	global_load_dword v40, v[6:7], off offset:448
	global_load_dword v41, v[6:7], off offset:808
	;; [unrolled: 1-line block ×6, first 2 shown]
	v_lshl_add_u32 v1, v24, 2, 0
	v_add_nc_u32_e32 v7, 0x200, v1
	v_add_nc_u32_e32 v44, 0x400, v1
	;; [unrolled: 1-line block ×14, first 2 shown]
	s_waitcnt vmcnt(28)
	ds_write2_b32 v1, v8, v9 offset1:90
	s_waitcnt vmcnt(26)
	ds_write2_b32 v7, v10, v11 offset0:52 offset1:142
	s_waitcnt vmcnt(24)
	ds_write2_b32 v44, v12, v13 offset0:104 offset1:194
	;; [unrolled: 2-line block ×14, first 2 shown]
.LBB0_13:
	s_or_b32 exec_lo, exec_lo, s1
	v_lshlrev_b32_e32 v25, 2, v24
	s_waitcnt lgkmcnt(0)
	s_barrier
	buffer_gl0_inv
	v_mov_b32_e32 v73, 0x78
	v_add_nc_u32_e32 v40, 0, v25
	s_add_u32 s1, s8, 0x2a24
	s_addc_u32 s4, s9, 0
	s_mov_b32 s5, exec_lo
	v_add_nc_u32_e32 v60, 0x800, v40
	v_add_nc_u32_e32 v27, 0x1400, v40
	;; [unrolled: 1-line block ×7, first 2 shown]
	ds_read2_b32 v[0:1], v60 offset0:28 offset1:118
	ds_read2_b32 v[2:3], v27 offset0:160 offset1:250
	;; [unrolled: 1-line block ×6, first 2 shown]
	v_add_nc_u32_e32 v32, 0x2400, v40
	v_add_nc_u32_e32 v44, 0x2000, v40
	;; [unrolled: 1-line block ×4, first 2 shown]
	ds_read2_b32 v[12:13], v51 offset0:60 offset1:150
	ds_read2_b32 v[14:15], v32 offset0:36 offset1:126
	;; [unrolled: 1-line block ×3, first 2 shown]
	ds_read2_b32 v[18:19], v40 offset1:90
	ds_read2_b32 v[20:21], v52 offset0:132 offset1:222
	ds_read2_b32 v[22:23], v53 offset0:8 offset1:98
	v_add_nc_u32_e32 v49, 0x1800, v40
	v_add_nc_u32_e32 v48, 0x2600, v40
	s_waitcnt lgkmcnt(10)
	v_pk_add_f16 v41, v1, v3
	v_pk_add_f16 v42, v0, v2
	s_waitcnt lgkmcnt(8)
	v_pk_add_f16 v43, v5, v7
	v_pk_add_f16 v45, v4, v6
	;; [unrolled: 3-line block ×3, first 2 shown]
	s_waitcnt lgkmcnt(5)
	v_pk_add_f16 v56, v11, v13
	v_pk_add_f16 v57, v11, v13 neg_lo:[0,1] neg_hi:[0,1]
	s_waitcnt lgkmcnt(4)
	v_pk_add_f16 v58, v41, v15
	v_pk_add_f16 v59, v42, v14
	s_waitcnt lgkmcnt(3)
	v_pk_add_f16 v62, v43, v17
	v_pk_add_f16 v41, v45, v16
	;; [unrolled: 1-line block ×4, first 2 shown]
	v_pk_add_f16 v16, v6, v16 neg_lo:[0,1] neg_hi:[0,1]
	v_pk_add_f16 v45, v7, v17
	v_pk_add_f16 v17, v7, v17 neg_lo:[0,1] neg_hi:[0,1]
	v_pk_add_f16 v46, v2, v14
	v_pk_add_f16 v14, v2, v14 neg_lo:[0,1] neg_hi:[0,1]
	s_waitcnt lgkmcnt(1)
	v_pk_add_f16 v2, v19, v21
	s_waitcnt lgkmcnt(0)
	v_pk_add_f16 v6, v20, v22
	v_pk_add_f16 v7, v20, v22 neg_lo:[0,1] neg_hi:[0,1]
	v_pk_add_f16 v54, v10, v12
	v_pk_add_f16 v55, v10, v12 neg_lo:[0,1] neg_hi:[0,1]
	v_pk_add_f16 v12, v47, v12
	v_pk_add_f16 v47, v3, v15
	v_pk_add_f16 v15, v3, v15 neg_lo:[0,1] neg_hi:[0,1]
	v_pk_add_f16 v3, v18, v20
	;; [unrolled: 3-line block ×3, first 2 shown]
	v_pk_fma_f16 v2, v6, 0.5, v18 op_sel_hi:[1,0,1] neg_lo:[1,0,0] neg_hi:[1,0,0]
	v_pk_mul_f16 v6, 0x3aee, v7 op_sel_hi:[0,1]
	v_pk_add_f16 v18, v3, v22
	v_pk_fma_f16 v19, v20, 0.5, v19 op_sel_hi:[1,0,1] neg_lo:[1,0,0] neg_hi:[1,0,0]
	v_pk_mul_f16 v20, 0x3aee, v21 op_sel_hi:[0,1]
	v_add_nc_u32_e32 v3, 0xa00, v40
	v_pk_add_f16 v22, v2, v6 op_sel:[0,1] op_sel_hi:[1,0] neg_lo:[0,1] neg_hi:[0,1]
	v_pk_add_f16 v43, v2, v6 op_sel:[0,1] op_sel_hi:[1,0]
	v_mad_u32_u24 v21, v24, 12, 0
	v_pk_add_f16 v64, v19, v20 op_sel:[0,1] op_sel_hi:[1,0] neg_lo:[0,1] neg_hi:[0,1]
	v_pk_add_f16 v19, v19, v20 op_sel:[0,1] op_sel_hi:[1,0]
	v_pk_fma_f16 v8, v54, 0.5, v8 op_sel_hi:[1,0,1] neg_lo:[1,0,0] neg_hi:[1,0,0]
	v_bfi_b32 v63, 0xffff, v22, v43
	v_pk_mul_f16 v20, 0x3aee, v55 op_sel_hi:[0,1]
	ds_read2_b32 v[2:3], v3 offset0:80 offset1:170
	ds_read2_b32 v[6:7], v49 offset0:84 offset1:174
	;; [unrolled: 1-line block ×3, first 2 shown]
	s_waitcnt lgkmcnt(0)
	s_barrier
	buffer_gl0_inv
	v_bfi_b32 v22, 0xffff, v43, v22
	ds_write2_b32 v21, v18, v63 offset1:1
	v_pk_add_f16 v18, v8, v20 op_sel:[0,1] op_sel_hi:[1,0] neg_lo:[0,1] neg_hi:[0,1]
	v_pk_add_f16 v8, v8, v20 op_sel:[0,1] op_sel_hi:[1,0]
	v_mad_i32_i24 v43, v26, 12, 0
	v_bfi_b32 v54, 0xffff, v64, v19
	ds_write_b32 v21, v22 offset:8
	ds_write2_b32 v43, v23, v54 offset1:1
	v_bfi_b32 v19, 0xffff, v19, v64
	v_mad_i32_i24 v20, v38, 12, 0
	v_bfi_b32 v21, 0xffff, v18, v8
	v_pk_fma_f16 v9, v56, 0.5, v9 op_sel_hi:[1,0,1] neg_lo:[1,0,0] neg_hi:[1,0,0]
	v_pk_mul_f16 v22, 0x3aee, v57 op_sel_hi:[0,1]
	v_pk_fma_f16 v4, v42, 0.5, v4 op_sel_hi:[1,0,1] neg_lo:[1,0,0] neg_hi:[1,0,0]
	v_pk_mul_f16 v16, 0x3aee, v16 op_sel_hi:[0,1]
	ds_write_b32 v43, v19 offset:8
	ds_write2_b32 v20, v12, v21 offset1:1
	v_pk_add_f16 v12, v9, v22 op_sel:[0,1] op_sel_hi:[1,0] neg_lo:[0,1] neg_hi:[0,1]
	v_pk_add_f16 v9, v9, v22 op_sel:[0,1] op_sel_hi:[1,0]
	v_bfi_b32 v8, 0xffff, v8, v18
	v_pk_add_f16 v18, v4, v16 op_sel:[0,1] op_sel_hi:[1,0] neg_lo:[0,1] neg_hi:[0,1]
	v_pk_add_f16 v4, v4, v16 op_sel:[0,1] op_sel_hi:[1,0]
	v_pk_fma_f16 v5, v45, 0.5, v5 op_sel_hi:[1,0,1] neg_lo:[1,0,0] neg_hi:[1,0,0]
	v_pk_mul_f16 v17, 0x3aee, v17 op_sel_hi:[0,1]
	v_bfi_b32 v16, 0xffff, v12, v9
	v_bfi_b32 v9, 0xffff, v9, v12
	v_mad_i32_i24 v12, v36, 12, 0
	v_bfi_b32 v19, 0xffff, v18, v4
	v_pk_fma_f16 v0, v46, 0.5, v0 op_sel_hi:[1,0,1] neg_lo:[1,0,0] neg_hi:[1,0,0]
	v_bfi_b32 v4, 0xffff, v4, v18
	v_pk_add_f16 v18, v5, v17 op_sel:[0,1] op_sel_hi:[1,0] neg_lo:[0,1] neg_hi:[0,1]
	v_pk_add_f16 v5, v5, v17 op_sel:[0,1] op_sel_hi:[1,0]
	v_pk_mul_f16 v14, 0x3aee, v14 op_sel_hi:[0,1]
	v_mad_i32_i24 v43, v37, 12, 0
	v_pk_fma_f16 v1, v47, 0.5, v1 op_sel_hi:[1,0,1] neg_lo:[1,0,0] neg_hi:[1,0,0]
	v_pk_mul_f16 v15, 0x3aee, v15 op_sel_hi:[0,1]
	ds_write_b32 v20, v8 offset:8
	ds_write2_b32 v43, v13, v16 offset1:1
	ds_write_b32 v43, v9 offset:8
	v_mad_i32_i24 v8, v35, 12, 0
	ds_write2_b32 v12, v41, v19 offset1:1
	ds_write_b32 v12, v4 offset:8
	v_bfi_b32 v4, 0xffff, v18, v5
	v_pk_add_f16 v12, v0, v14 op_sel:[0,1] op_sel_hi:[1,0] neg_lo:[0,1] neg_hi:[0,1]
	v_pk_add_f16 v0, v0, v14 op_sel:[0,1] op_sel_hi:[1,0]
	v_pk_add_f16 v14, v1, v15 op_sel:[0,1] op_sel_hi:[1,0] neg_lo:[0,1] neg_hi:[0,1]
	v_pk_add_f16 v1, v1, v15 op_sel:[0,1] op_sel_hi:[1,0]
	v_mad_i32_i24 v42, v34, 12, 0
	v_bfi_b32 v5, 0xffff, v5, v18
	ds_write2_b32 v8, v62, v4 offset1:1
	v_bfi_b32 v4, 0xffff, v12, v0
	v_and_b32_e32 v63, 0xff, v24
	v_bfi_b32 v0, 0xffff, v0, v12
	v_mad_i32_i24 v9, v31, 12, 0
	v_bfi_b32 v12, 0xffff, v14, v1
	v_pk_add_f16 v16, v3, v7
	v_pk_add_f16 v19, v2, v6
	ds_write_b32 v8, v5 offset:8
	ds_write2_b32 v42, v59, v4 offset1:1
	ds_write_b32 v42, v0 offset:8
	ds_write2_b32 v9, v58, v12 offset1:1
	v_pk_add_f16 v0, v6, v10
	v_mul_lo_u16 v4, 0xab, v63
	v_pk_add_f16 v5, v6, v10 neg_lo:[0,1] neg_hi:[0,1]
	v_pk_add_f16 v6, v7, v11
	v_pk_add_f16 v7, v7, v11 neg_lo:[0,1] neg_hi:[0,1]
	v_pk_fma_f16 v0, v0, 0.5, v2 op_sel_hi:[1,0,1] neg_lo:[1,0,0] neg_hi:[1,0,0]
	v_lshrrev_b16 v55, 9, v4
	v_pk_mul_f16 v2, 0x3aee, v5 op_sel_hi:[0,1]
	v_pk_fma_f16 v3, v6, 0.5, v3 op_sel_hi:[1,0,1] neg_lo:[1,0,0] neg_hi:[1,0,0]
	v_pk_mul_f16 v4, 0x3aee, v7 op_sel_hi:[0,1]
	v_and_b32_e32 v64, 0xff, v26
	v_bfi_b32 v1, 0xffff, v1, v14
	v_pk_add_f16 v6, v0, v2 op_sel:[0,1] op_sel_hi:[1,0] neg_lo:[0,1] neg_hi:[0,1]
	v_pk_add_f16 v0, v0, v2 op_sel:[0,1] op_sel_hi:[1,0]
	v_pk_add_f16 v2, v3, v4 op_sel:[0,1] op_sel_hi:[1,0] neg_lo:[0,1] neg_hi:[0,1]
	v_pk_add_f16 v3, v3, v4 op_sel:[0,1] op_sel_hi:[1,0]
	v_mul_lo_u16 v5, v55, 3
	v_mad_i32_i24 v13, v33, 12, 0
	v_pk_add_f16 v17, v19, v10
	ds_write_b32 v9, v1 offset:8
	v_bfi_b32 v4, 0xffff, v2, v3
	v_bfi_b32 v2, 0xffff, v3, v2
	v_mul_lo_u16 v3, 0xab, v64
	v_bfi_b32 v1, 0xffff, v6, v0
	v_sub_nc_u16 v70, v24, v5
	v_mov_b32_e32 v62, 9
	v_bfi_b32 v0, 0xffff, v0, v6
	v_lshrrev_b16 v67, 9, v3
	v_mad_i32_i24 v41, v30, 12, 0
	v_pk_add_f16 v16, v16, v11
	ds_write2_b32 v13, v17, v1 offset1:1
	ds_write_b32 v13, v0 offset:8
	ds_write2_b32 v41, v16, v4 offset1:1
	v_mul_lo_u16 v0, v67, 3
	v_mov_b32_e32 v1, 0xaaab
	v_mul_u32_u24_sdwa v5, v70, v62 dst_sel:DWORD dst_unused:UNUSED_PAD src0_sel:BYTE_0 src1_sel:DWORD
	ds_write_b32 v41, v2 offset:8
	s_waitcnt lgkmcnt(0)
	v_sub_nc_u16 v68, v26, v0
	v_mul_u32_u24_sdwa v0, v38, v1 dst_sel:DWORD dst_unused:UNUSED_PAD src0_sel:WORD_0 src1_sel:DWORD
	v_lshlrev_b32_e32 v45, 2, v5
	s_barrier
	buffer_gl0_inv
	v_mul_u32_u24_sdwa v1, v68, v62 dst_sel:DWORD dst_unused:UNUSED_PAD src0_sel:BYTE_0 src1_sel:DWORD
	v_lshrrev_b32_e32 v66, 17, v0
	global_load_dwordx4 v[16:19], v45, s[8:9]
	v_mov_b32_e32 v59, 2
	v_lshlrev_b32_e32 v46, 3, v34
	v_lshlrev_b32_e32 v72, 2, v1
	v_mul_lo_u16 v0, v66, 3
	v_lshlrev_b32_e32 v47, 3, v30
	v_mul_u32_u24_sdwa v82, v55, v73 dst_sel:DWORD dst_unused:UNUSED_PAD src0_sel:WORD_0 src1_sel:DWORD
	v_lshlrev_b32_sdwa v70, v59, v70 dst_sel:DWORD dst_unused:UNUSED_PAD src0_sel:DWORD src1_sel:BYTE_0
	global_load_dwordx4 v[12:15], v72, s[8:9]
	v_sub_nc_u16 v65, v38, v0
	v_sub_nc_u32_e32 v57, v42, v46
	v_sub_nc_u32_e32 v56, v41, v47
	v_add3_u32 v99, 0, v82, v70
	v_lshl_add_u32 v54, v38, 2, 0
	v_mul_u32_u24_sdwa v0, v65, v62 dst_sel:DWORD dst_unused:UNUSED_PAD src0_sel:WORD_0 src1_sel:DWORD
	v_lshl_add_u32 v55, v26, 2, 0
	v_mul_u32_u24_sdwa v67, v67, v73 dst_sel:DWORD dst_unused:UNUSED_PAD src0_sel:WORD_0 src1_sel:DWORD
	v_lshlrev_b32_sdwa v68, v59, v68 dst_sel:DWORD dst_unused:UNUSED_PAD src0_sel:DWORD src1_sel:BYTE_0
	v_mul_u32_u24_e32 v66, 0x78, v66
	v_lshlrev_b32_e32 v69, 2, v0
	s_clause 0x4
	global_load_dwordx4 v[4:7], v69, s[8:9]
	global_load_dwordx4 v[0:3], v45, s[8:9] offset:16
	global_load_dwordx4 v[20:23], v72, s[8:9] offset:16
	;; [unrolled: 1-line block ×3, first 2 shown]
	global_load_dword v71, v45, s[8:9] offset:32
	v_lshlrev_b32_e32 v45, 3, v37
	v_add3_u32 v67, 0, v67, v68
	v_lshlrev_b32_sdwa v65, v59, v65 dst_sel:DWORD dst_unused:UNUSED_PAD src0_sel:DWORD src1_sel:WORD_0
	v_sub_nc_u32_e32 v58, v43, v45
	ds_read_b32 v96, v58
	ds_read_b32 v97, v57
	;; [unrolled: 1-line block ×3, first 2 shown]
	ds_read2_b32 v[74:75], v50 offset0:56 offset1:146
	ds_read2_b32 v[76:77], v61 offset0:104 offset1:194
	;; [unrolled: 1-line block ×11, first 2 shown]
	ds_read_b32 v100, v40
	global_load_dword v101, v72, s[8:9] offset:32
	ds_read_b32 v70, v54
	ds_read_b32 v72, v55
	global_load_dword v69, v69, s[8:9] offset:32
	v_add3_u32 v65, 0, v66, v65
	s_waitcnt lgkmcnt(16)
	v_lshrrev_b32_e32 v102, 16, v96
	s_waitcnt lgkmcnt(15)
	v_lshrrev_b32_e32 v103, 16, v97
	;; [unrolled: 2-line block ×4, first 2 shown]
	v_lshrrev_b32_e32 v106, 16, v75
	s_waitcnt lgkmcnt(12)
	v_lshrrev_b32_e32 v107, 16, v76
	s_waitcnt lgkmcnt(11)
	;; [unrolled: 2-line block ×3, first 2 shown]
	v_lshrrev_b32_e32 v109, 16, v80
	v_lshrrev_b32_e32 v110, 16, v77
	;; [unrolled: 1-line block ×4, first 2 shown]
	s_waitcnt vmcnt(8)
	v_mul_f16_sdwa v111, v16, v102 dst_sel:DWORD dst_unused:UNUSED_PAD src0_sel:WORD_1 src1_sel:DWORD
	v_mul_f16_sdwa v113, v16, v96 dst_sel:DWORD dst_unused:UNUSED_PAD src0_sel:WORD_1 src1_sel:DWORD
	v_mul_f16_sdwa v115, v103, v17 dst_sel:DWORD dst_unused:UNUSED_PAD src0_sel:DWORD src1_sel:WORD_1
	v_fmac_f16_e32 v111, v16, v96
	v_mul_f16_sdwa v96, v97, v17 dst_sel:DWORD dst_unused:UNUSED_PAD src0_sel:DWORD src1_sel:WORD_1
	v_fma_f16 v102, v16, v102, -v113
	v_mul_f16_sdwa v113, v104, v18 dst_sel:DWORD dst_unused:UNUSED_PAD src0_sel:DWORD src1_sel:WORD_1
	v_fmac_f16_e32 v115, v97, v17
	v_mul_f16_sdwa v16, v98, v18 dst_sel:DWORD dst_unused:UNUSED_PAD src0_sel:DWORD src1_sel:WORD_1
	v_mul_f16_sdwa v97, v105, v19 dst_sel:DWORD dst_unused:UNUSED_PAD src0_sel:DWORD src1_sel:WORD_1
	v_fma_f16 v96, v103, v17, -v96
	v_mul_f16_sdwa v17, v74, v19 dst_sel:DWORD dst_unused:UNUSED_PAD src0_sel:DWORD src1_sel:WORD_1
	v_fmac_f16_e32 v113, v98, v18
	v_fma_f16 v98, v104, v18, -v16
	s_waitcnt vmcnt(7)
	v_mul_f16_sdwa v104, v106, v15 dst_sel:DWORD dst_unused:UNUSED_PAD src0_sel:DWORD src1_sel:WORD_1
	v_fmac_f16_e32 v97, v74, v19
	v_mul_f16_sdwa v16, v75, v15 dst_sel:DWORD dst_unused:UNUSED_PAD src0_sel:DWORD src1_sel:WORD_1
	v_mul_f16_sdwa v74, v76, v12 dst_sel:DWORD dst_unused:UNUSED_PAD src0_sel:DWORD src1_sel:WORD_1
	v_fma_f16 v103, v105, v19, -v17
	v_fmac_f16_e32 v104, v75, v15
	v_mul_f16_sdwa v75, v107, v12 dst_sel:DWORD dst_unused:UNUSED_PAD src0_sel:DWORD src1_sel:WORD_1
	v_mul_f16_sdwa v105, v78, v13 dst_sel:DWORD dst_unused:UNUSED_PAD src0_sel:DWORD src1_sel:WORD_1
	v_fma_f16 v106, v106, v15, -v16
	v_mul_f16_sdwa v15, v80, v14 dst_sel:DWORD dst_unused:UNUSED_PAD src0_sel:DWORD src1_sel:WORD_1
	v_fma_f16 v74, v107, v12, -v74
	v_mul_f16_sdwa v107, v108, v13 dst_sel:DWORD dst_unused:UNUSED_PAD src0_sel:DWORD src1_sel:WORD_1
	v_fma_f16 v105, v108, v13, -v105
	v_mul_f16_sdwa v108, v109, v14 dst_sel:DWORD dst_unused:UNUSED_PAD src0_sel:DWORD src1_sel:WORD_1
	v_fma_f16 v109, v109, v14, -v15
	s_waitcnt vmcnt(6)
	v_mul_f16_sdwa v15, v110, v4 dst_sel:DWORD dst_unused:UNUSED_PAD src0_sel:DWORD src1_sel:WORD_1
	v_fmac_f16_e32 v107, v78, v13
	v_mul_f16_sdwa v13, v77, v4 dst_sel:DWORD dst_unused:UNUSED_PAD src0_sel:DWORD src1_sel:WORD_1
	s_waitcnt lgkmcnt(9)
	v_lshrrev_b32_e32 v18, 16, v82
	v_lshrrev_b32_e32 v17, 16, v83
	v_fmac_f16_e32 v75, v76, v12
	v_fmac_f16_e32 v108, v80, v14
	v_mul_f16_sdwa v14, v112, v5 dst_sel:DWORD dst_unused:UNUSED_PAD src0_sel:DWORD src1_sel:WORD_1
	v_fmac_f16_e32 v15, v77, v4
	v_mul_f16_sdwa v12, v114, v6 dst_sel:DWORD dst_unused:UNUSED_PAD src0_sel:DWORD src1_sel:WORD_1
	v_mul_f16_sdwa v16, v79, v5 dst_sel:DWORD dst_unused:UNUSED_PAD src0_sel:DWORD src1_sel:WORD_1
	;; [unrolled: 1-line block ×3, first 2 shown]
	v_fma_f16 v4, v110, v4, -v13
	v_mul_f16_sdwa v110, v82, v7 dst_sel:DWORD dst_unused:UNUSED_PAD src0_sel:DWORD src1_sel:WORD_1
	s_waitcnt lgkmcnt(8)
	v_lshrrev_b32_e32 v19, 16, v84
	s_waitcnt lgkmcnt(7)
	v_lshrrev_b32_e32 v76, 16, v87
	;; [unrolled: 2-line block ×3, first 2 shown]
	v_lshrrev_b32_e32 v77, 16, v85
	v_fmac_f16_e32 v14, v79, v5
	v_fmac_f16_e32 v12, v81, v6
	v_fma_f16 v13, v112, v5, -v16
	v_mul_f16_sdwa v16, v18, v7 dst_sel:DWORD dst_unused:UNUSED_PAD src0_sel:DWORD src1_sel:WORD_1
	v_fma_f16 v5, v114, v6, -v80
	v_fma_f16 v6, v18, v7, -v110
	s_waitcnt vmcnt(5)
	v_mul_f16_sdwa v110, v17, v0 dst_sel:DWORD dst_unused:UNUSED_PAD src0_sel:DWORD src1_sel:WORD_1
	v_mul_f16_sdwa v18, v83, v0 dst_sel:DWORD dst_unused:UNUSED_PAD src0_sel:DWORD src1_sel:WORD_1
	;; [unrolled: 1-line block ×4, first 2 shown]
	v_lshrrev_b32_e32 v79, 16, v89
	s_waitcnt lgkmcnt(5)
	v_lshrrev_b32_e32 v81, 16, v90
	v_fmac_f16_e32 v16, v82, v7
	v_lshrrev_b32_e32 v82, 16, v86
	v_fmac_f16_e32 v110, v83, v0
	v_mul_f16_sdwa v83, v19, v1 dst_sel:DWORD dst_unused:UNUSED_PAD src0_sel:DWORD src1_sel:WORD_1
	v_fma_f16 v116, v17, v0, -v18
	v_mul_f16_sdwa v0, v88, v3 dst_sel:DWORD dst_unused:UNUSED_PAD src0_sel:DWORD src1_sel:WORD_1
	v_fma_f16 v19, v19, v1, -v112
	;; [unrolled: 2-line block ×3, first 2 shown]
	v_mul_f16_sdwa v114, v78, v3 dst_sel:DWORD dst_unused:UNUSED_PAD src0_sel:DWORD src1_sel:WORD_1
	s_waitcnt vmcnt(4)
	v_mul_f16_sdwa v117, v77, v21 dst_sel:DWORD dst_unused:UNUSED_PAD src0_sel:DWORD src1_sel:WORD_1
	v_fma_f16 v78, v78, v3, -v0
	v_fmac_f16_e32 v83, v84, v1
	v_fmac_f16_e32 v112, v87, v2
	;; [unrolled: 1-line block ×3, first 2 shown]
	v_mul_f16_sdwa v87, v79, v23 dst_sel:DWORD dst_unused:UNUSED_PAD src0_sel:DWORD src1_sel:WORD_1
	s_waitcnt lgkmcnt(3)
	v_lshrrev_b32_e32 v88, 16, v95
	v_fmac_f16_e32 v117, v85, v21
	v_mul_f16_sdwa v0, v85, v21 dst_sel:DWORD dst_unused:UNUSED_PAD src0_sel:DWORD src1_sel:WORD_1
	v_mul_f16_sdwa v1, v89, v23 dst_sel:DWORD dst_unused:UNUSED_PAD src0_sel:DWORD src1_sel:WORD_1
	;; [unrolled: 1-line block ×4, first 2 shown]
	s_waitcnt vmcnt(3)
	v_mul_f16_sdwa v17, v82, v9 dst_sel:DWORD dst_unused:UNUSED_PAD src0_sel:DWORD src1_sel:WORD_1
	v_lshrrev_b32_e32 v80, 16, v92
	v_fmac_f16_e32 v87, v89, v23
	v_fma_f16 v23, v79, v23, -v1
	v_fma_f16 v79, v81, v20, -v2
	v_fmac_f16_e32 v85, v90, v20
	v_mul_f16_sdwa v20, v86, v9 dst_sel:DWORD dst_unused:UNUSED_PAD src0_sel:DWORD src1_sel:WORD_1
	v_fmac_f16_e32 v17, v86, v9
	s_waitcnt vmcnt(2)
	v_mul_f16_sdwa v86, v88, v71 dst_sel:DWORD dst_unused:UNUSED_PAD src0_sel:DWORD src1_sel:WORD_1
	v_lshrrev_b32_e32 v7, 16, v91
	v_lshrrev_b32_e32 v3, 16, v93
	;; [unrolled: 1-line block ×3, first 2 shown]
	v_fma_f16 v21, v77, v21, -v0
	v_mul_f16_sdwa v0, v92, v22 dst_sel:DWORD dst_unused:UNUSED_PAD src0_sel:DWORD src1_sel:WORD_1
	v_mul_f16_sdwa v77, v80, v22 dst_sel:DWORD dst_unused:UNUSED_PAD src0_sel:DWORD src1_sel:WORD_1
	;; [unrolled: 1-line block ×4, first 2 shown]
	v_fmac_f16_e32 v86, v95, v71
	s_waitcnt lgkmcnt(2)
	v_lshrrev_b32_e32 v81, 16, v100
	v_fma_f16 v80, v80, v22, -v0
	v_mul_f16_sdwa v0, v7, v8 dst_sel:DWORD dst_unused:UNUSED_PAD src0_sel:DWORD src1_sel:WORD_1
	v_fmac_f16_e32 v77, v92, v22
	v_mul_f16_sdwa v1, v3, v10 dst_sel:DWORD dst_unused:UNUSED_PAD src0_sel:DWORD src1_sel:WORD_1
	v_mul_f16_sdwa v22, v93, v10 dst_sel:DWORD dst_unused:UNUSED_PAD src0_sel:DWORD src1_sel:WORD_1
	;; [unrolled: 1-line block ×4, first 2 shown]
	v_fma_f16 v2, v7, v8, -v2
	v_fma_f16 v7, v82, v9, -v20
	;; [unrolled: 1-line block ×3, first 2 shown]
	v_sub_f16_e32 v71, v113, v110
	v_sub_f16_e32 v82, v86, v112
	v_fmac_f16_e32 v0, v91, v8
	v_fmac_f16_e32 v1, v93, v10
	v_fma_f16 v3, v3, v10, -v22
	v_fma_f16 v8, v84, v11, -v89
	v_fmac_f16_e32 v18, v94, v11
	v_sub_f16_e32 v10, v115, v97
	v_sub_f16_e32 v11, v114, v83
	v_add_f16_e32 v88, v100, v115
	v_add_f16_e32 v89, v81, v96
	;; [unrolled: 1-line block ×10, first 2 shown]
	v_sub_f16_e32 v20, v96, v103
	v_sub_f16_e32 v22, v78, v19
	v_add_f16_e32 v11, v11, v83
	v_add_f16_e32 v89, v89, v19
	;; [unrolled: 1-line block ×4, first 2 shown]
	v_sub_f16_e32 v84, v98, v116
	v_add_f16_e32 v91, v97, v83
	v_add_f16_e32 v92, v115, v114
	v_sub_f16_e32 v93, v97, v115
	v_sub_f16_e32 v88, v83, v114
	;; [unrolled: 1-line block ×3, first 2 shown]
	v_add_f16_e32 v20, v20, v22
	v_add_f16_e32 v22, v103, v19
	v_sub_f16_e32 v83, v96, v78
	v_add_f16_e32 v11, v11, v114
	v_sub_f16_e32 v97, v103, v19
	v_sub_f16_e32 v103, v103, v96
	v_add_f16_e32 v96, v96, v78
	v_sub_f16_e32 v19, v19, v78
	v_add_f16_e32 v78, v89, v78
	;; [unrolled: 2-line block ×3, first 2 shown]
	v_add_f16_e32 v82, v82, v9
	v_sub_f16_e32 v95, v115, v114
	v_add_f16_e32 v88, v93, v88
	v_add_f16_e32 v84, v84, v89
	v_fma_f16 v89, -0.5, v91, v100
	v_fmac_f16_e32 v100, -0.5, v92
	v_add_f16_e32 v91, v11, v90
	v_add_f16_e32 v92, v78, v82
	;; [unrolled: 1-line block ×3, first 2 shown]
	v_sub_f16_e32 v114, v113, v86
	v_sub_f16_e32 v115, v110, v112
	;; [unrolled: 1-line block ×3, first 2 shown]
	v_pack_b32_f16 v91, v91, v92
	v_add_f16_e32 v92, v116, v76
	v_fma_f16 v93, -0.5, v93, v111
	v_sub_f16_e32 v120, v116, v76
	v_fma_f16 v22, -0.5, v22, v81
	v_fmac_f16_e32 v81, -0.5, v96
	v_fma_f16 v92, -0.5, v92, v102
	v_fmamk_f16 v121, v119, 0xbb9c, v93
	v_add_f16_e32 v19, v103, v19
	v_fmamk_f16 v123, v95, 0x3b9c, v22
	v_add_f16_e32 v96, v113, v86
	v_fmamk_f16 v118, v114, 0x3b9c, v92
	v_fmac_f16_e32 v121, 0xb8b4, v120
	v_fmamk_f16 v103, v94, 0xbb9c, v81
	v_fmac_f16_e32 v123, 0x38b4, v94
	v_fmac_f16_e32 v81, 0x3b9c, v94
	v_fmac_f16_e32 v118, 0x38b4, v115
	v_fmac_f16_e32 v121, 0x34f2, v71
	v_sub_f16_e32 v86, v112, v86
	v_fmac_f16_e32 v123, 0x34f2, v20
	v_fmac_f16_e32 v103, 0x38b4, v95
	;; [unrolled: 1-line block ×4, first 2 shown]
	v_fmac_f16_e32 v111, -0.5, v96
	v_fmac_f16_e32 v92, 0xbb9c, v114
	v_fmac_f16_e32 v103, 0x34f2, v19
	v_mul_f16_e32 v122, 0xb8b4, v118
	v_mul_f16_e32 v118, 0x3a79, v118
	v_fmac_f16_e32 v81, 0x34f2, v19
	v_fmac_f16_e32 v22, 0xbb9c, v95
	;; [unrolled: 1-line block ×5, first 2 shown]
	v_fmamk_f16 v121, v83, 0xbb9c, v89
	v_fmac_f16_e32 v89, 0x3b9c, v83
	v_fmac_f16_e32 v92, 0xb8b4, v115
	;; [unrolled: 1-line block ×3, first 2 shown]
	v_add_f16_e32 v125, v123, v118
	v_fmac_f16_e32 v121, 0xb8b4, v97
	v_fmac_f16_e32 v89, 0x38b4, v97
	v_fmac_f16_e32 v93, 0x38b4, v120
	v_fmac_f16_e32 v92, 0x34f2, v84
	v_fmac_f16_e32 v22, 0x34f2, v20
	v_fmac_f16_e32 v121, 0x34f2, v10
	v_fmac_f16_e32 v89, 0x34f2, v10
	v_fmac_f16_e32 v93, 0x34f2, v71
	v_mul_f16_e32 v20, 0xb8b4, v92
	v_mul_f16_e32 v71, 0xba79, v92
	v_add_f16_e32 v124, v121, v122
	v_sub_f16_e32 v11, v11, v90
	v_sub_f16_e32 v78, v78, v82
	v_fmac_f16_e32 v20, 0xba79, v93
	v_fmac_f16_e32 v71, 0x38b4, v93
	v_pack_b32_f16 v124, v124, v125
	v_fmamk_f16 v125, v97, 0x3b9c, v100
	v_fmac_f16_e32 v100, 0xbb9c, v97
	v_add_f16_e32 v82, v89, v20
	v_add_f16_e32 v93, v22, v71
	v_sub_f16_e32 v92, v121, v122
	v_fmac_f16_e32 v125, 0xb8b4, v83
	v_fmac_f16_e32 v100, 0x38b4, v83
	v_sub_f16_e32 v94, v123, v118
	v_pack_b32_f16 v82, v82, v93
	v_pack_b32_f16 v11, v11, v78
	v_fmac_f16_e32 v125, 0x34f2, v88
	v_fmac_f16_e32 v100, 0x34f2, v88
	v_sub_f16_e32 v88, v110, v113
	v_pack_b32_f16 v78, v92, v94
	v_sub_f16_e32 v22, v22, v71
	v_add_f16_e32 v71, v79, v80
	v_sub_f16_e32 v20, v89, v20
	v_add_f16_e32 v19, v88, v86
	v_add_f16_e32 v86, v98, v9
	v_sub_f16_e32 v9, v76, v9
	v_fmamk_f16 v76, v120, 0x3b9c, v111
	v_fmac_f16_e32 v111, 0xbb9c, v120
	v_fma_f16 v71, -0.5, v71, v74
	v_fmac_f16_e32 v102, -0.5, v86
	v_sub_f16_e32 v86, v116, v98
	v_fmac_f16_e32 v76, 0xb8b4, v119
	v_fmac_f16_e32 v111, 0x38b4, v119
	v_pack_b32_f16 v20, v20, v22
	v_sub_f16_e32 v22, v107, v104
	v_add_f16_e32 v9, v86, v9
	v_fmac_f16_e32 v76, 0x34f2, v19
	v_fmac_f16_e32 v111, 0x34f2, v19
	v_fmamk_f16 v19, v115, 0xbb9c, v102
	v_fmac_f16_e32 v102, 0x3b9c, v115
	v_sub_f16_e32 v92, v23, v21
	v_add_f16_e32 v73, v74, v109
	v_add_f16_e32 v94, v106, v21
	v_fmac_f16_e32 v19, 0x38b4, v114
	v_fmac_f16_e32 v102, 0xb8b4, v114
	v_sub_f16_e32 v95, v105, v23
	v_add_f16_e32 v73, v73, v79
	v_sub_f16_e32 v96, v107, v87
	v_fmac_f16_e32 v19, 0x34f2, v9
	v_fmac_f16_e32 v102, 0x34f2, v9
	v_sub_f16_e32 v98, v106, v21
	v_add_f16_e32 v73, v73, v80
	v_mul_f16_e32 v86, 0xbb9c, v19
	v_mul_f16_e32 v19, 0x34f2, v19
	;; [unrolled: 1-line block ×3, first 2 shown]
	v_fmac_f16_e32 v86, 0x34f2, v76
	v_fmac_f16_e32 v19, 0x3b9c, v76
	v_mul_f16_e32 v76, 0xbb9c, v102
	v_fmac_f16_e32 v88, 0x3b9c, v111
	v_sub_f16_e32 v102, v104, v117
	v_add_f16_e32 v9, v125, v86
	v_add_f16_e32 v83, v103, v19
	v_fmac_f16_e32 v76, 0xb4f2, v111
	v_add_f16_e32 v90, v81, v88
	v_sub_f16_e32 v86, v125, v86
	v_sub_f16_e32 v19, v103, v19
	v_pack_b32_f16 v83, v9, v83
	ds_read2_b32 v[9:10], v48 offset0:88 offset1:178
	v_add_f16_e32 v84, v100, v76
	s_waitcnt vmcnt(0) lgkmcnt(0)
	s_barrier
	buffer_gl0_inv
	v_pack_b32_f16 v19, v86, v19
	v_pack_b32_f16 v84, v84, v90
	ds_write2_b32 v99, v91, v124 offset1:3
	ds_write2_b32 v99, v83, v84 offset0:6 offset1:9
	ds_write2_b32 v99, v82, v11 offset0:12 offset1:15
	;; [unrolled: 1-line block ×3, first 2 shown]
	v_sub_f16_e32 v19, v100, v76
	v_sub_f16_e32 v76, v81, v88
	;; [unrolled: 1-line block ×6, first 2 shown]
	v_pack_b32_f16 v19, v19, v76
	v_add_f16_e32 v76, v85, v77
	v_lshrrev_b32_e32 v11, 16, v9
	v_mul_f16_sdwa v81, v9, v101 dst_sel:DWORD dst_unused:UNUSED_PAD src0_sel:DWORD src1_sel:WORD_1
	v_add_f16_e32 v103, v107, v87
	ds_write2_b32 v99, v19, v20 offset0:24 offset1:27
	v_fma_f16 v76, -0.5, v76, v75
	v_mul_f16_sdwa v78, v11, v101 dst_sel:DWORD dst_unused:UNUSED_PAD src0_sel:DWORD src1_sel:WORD_1
	v_sub_f16_e32 v79, v79, v109
	v_fmac_f16_e32 v78, v9, v101
	v_fma_f16 v9, v11, v101, -v81
	v_sub_f16_e32 v11, v108, v85
	v_sub_f16_e32 v81, v108, v78
	;; [unrolled: 1-line block ×5, first 2 shown]
	v_add_f16_e32 v73, v73, v9
	v_fmamk_f16 v86, v81, 0x3b9c, v71
	v_add_f16_e32 v82, v82, v83
	v_fmamk_f16 v83, v84, 0xbb9c, v76
	v_add_f16_e32 v11, v11, v89
	v_sub_f16_e32 v89, v87, v117
	v_fmac_f16_e32 v86, 0x38b4, v88
	v_fmac_f16_e32 v71, 0xbb9c, v81
	;; [unrolled: 1-line block ×4, first 2 shown]
	v_add_f16_e32 v20, v22, v89
	v_fmac_f16_e32 v86, 0x34f2, v82
	v_add_f16_e32 v22, v91, v92
	v_fmac_f16_e32 v83, 0x34f2, v11
	v_add_f16_e32 v89, v75, v108
	v_add_f16_e32 v92, v104, v117
	v_mul_f16_e32 v93, 0xb8b4, v86
	v_mul_f16_e32 v19, 0x3a79, v86
	v_lshrrev_b32_e32 v86, 16, v72
	v_add_f16_e32 v89, v89, v85
	v_fma_f16 v92, -0.5, v92, v72
	v_fmac_f16_e32 v93, 0x3a79, v83
	v_fmac_f16_e32 v19, 0x38b4, v83
	v_add_f16_e32 v83, v72, v107
	v_add_f16_e32 v91, v86, v105
	;; [unrolled: 1-line block ×3, first 2 shown]
	v_fma_f16 v94, -0.5, v94, v86
	v_fmamk_f16 v97, v95, 0xbb9c, v92
	v_add_f16_e32 v83, v83, v104
	v_add_f16_e32 v91, v91, v106
	;; [unrolled: 1-line block ×3, first 2 shown]
	v_fmamk_f16 v101, v96, 0x3b9c, v94
	v_fmac_f16_e32 v72, -0.5, v103
	v_add_f16_e32 v83, v83, v117
	v_add_f16_e32 v91, v91, v21
	v_fmac_f16_e32 v97, 0xb8b4, v98
	v_fmac_f16_e32 v101, 0x38b4, v102
	v_fmamk_f16 v103, v98, 0x3b9c, v72
	v_add_f16_e32 v83, v83, v87
	v_add_f16_e32 v91, v91, v23
	v_sub_f16_e32 v87, v117, v87
	v_fmac_f16_e32 v72, 0xbb9c, v98
	v_fmac_f16_e32 v97, 0x34f2, v20
	v_add_f16_e32 v99, v83, v89
	v_add_f16_e32 v100, v91, v73
	v_fmac_f16_e32 v101, 0x34f2, v22
	v_fmac_f16_e32 v103, 0xb8b4, v95
	;; [unrolled: 1-line block ×3, first 2 shown]
	v_sub_f16_e32 v21, v21, v23
	v_pack_b32_f16 v68, v99, v100
	v_sub_f16_e32 v99, v104, v107
	v_add_f16_e32 v100, v97, v93
	v_sub_f16_e32 v104, v106, v105
	v_add_f16_e32 v105, v105, v23
	;; [unrolled: 2-line block ×3, first 2 shown]
	v_add_f16_e32 v99, v101, v19
	v_sub_f16_e32 v77, v77, v78
	v_fmac_f16_e32 v86, -0.5, v105
	v_fmac_f16_e32 v71, 0xb8b4, v88
	v_fmac_f16_e32 v103, 0x34f2, v87
	v_fmac_f16_e32 v72, 0x34f2, v87
	v_add_f16_e32 v87, v109, v9
	v_pack_b32_f16 v23, v100, v99
	v_add_f16_e32 v99, v108, v78
	v_sub_f16_e32 v9, v80, v9
	v_fmamk_f16 v78, v102, 0xbb9c, v86
	v_fmac_f16_e32 v74, -0.5, v87
	v_fmac_f16_e32 v86, 0x3b9c, v102
	v_fmac_f16_e32 v75, -0.5, v99
	v_add_f16_e32 v9, v79, v9
	v_add_f16_e32 v21, v104, v21
	v_fmamk_f16 v80, v88, 0xbb9c, v74
	v_fmac_f16_e32 v74, 0x3b9c, v88
	v_fmamk_f16 v87, v90, 0x3b9c, v75
	v_fmac_f16_e32 v75, 0xbb9c, v90
	v_fmac_f16_e32 v78, 0x38b4, v96
	;; [unrolled: 1-line block ×5, first 2 shown]
	v_add_f16_e32 v77, v85, v77
	v_fmac_f16_e32 v87, 0xb8b4, v84
	v_fmac_f16_e32 v80, 0x34f2, v9
	;; [unrolled: 1-line block ×10, first 2 shown]
	v_mul_f16_e32 v9, 0xbb9c, v80
	v_fmac_f16_e32 v86, 0x34f2, v21
	v_fmac_f16_e32 v75, 0x34f2, v77
	v_mul_f16_e32 v21, 0x34f2, v80
	v_mul_f16_e32 v77, 0xbb9c, v74
	;; [unrolled: 1-line block ×3, first 2 shown]
	v_fmac_f16_e32 v92, 0x38b4, v98
	v_fmac_f16_e32 v94, 0xb8b4, v102
	;; [unrolled: 1-line block ×3, first 2 shown]
	v_mul_f16_e32 v11, 0xb8b4, v71
	v_mul_f16_e32 v71, 0xba79, v71
	v_fmac_f16_e32 v9, 0x34f2, v87
	v_fmac_f16_e32 v21, 0x3b9c, v87
	;; [unrolled: 1-line block ×8, first 2 shown]
	v_add_f16_e32 v75, v103, v9
	v_add_f16_e32 v79, v78, v21
	v_add_f16_e32 v20, v72, v77
	v_add_f16_e32 v22, v86, v74
	v_sub_f16_e32 v76, v83, v89
	v_add_f16_e32 v80, v92, v11
	v_add_f16_e32 v81, v94, v71
	v_sub_f16_e32 v73, v91, v73
	ds_write2_b32 v67, v68, v23 offset1:3
	v_pack_b32_f16 v23, v75, v79
	v_pack_b32_f16 v20, v20, v22
	;; [unrolled: 1-line block ×4, first 2 shown]
	v_sub_f16_e32 v9, v103, v9
	v_sub_f16_e32 v21, v78, v21
	ds_write2_b32 v67, v23, v20 offset0:6 offset1:9
	ds_write2_b32 v67, v22, v68 offset0:12 offset1:15
	v_lshrrev_b32_e32 v20, 16, v10
	v_sub_f16_e32 v22, v86, v74
	v_pack_b32_f16 v9, v9, v21
	v_sub_f16_e32 v21, v72, v77
	v_mul_f16_sdwa v68, v10, v69 dst_sel:DWORD dst_unused:UNUSED_PAD src0_sel:DWORD src1_sel:WORD_1
	v_mul_f16_sdwa v23, v20, v69 dst_sel:DWORD dst_unused:UNUSED_PAD src0_sel:DWORD src1_sel:WORD_1
	v_sub_f16_e32 v73, v97, v93
	v_sub_f16_e32 v19, v101, v19
	v_pack_b32_f16 v21, v21, v22
	v_add_f16_e32 v22, v2, v3
	v_fmac_f16_e32 v23, v10, v69
	v_fma_f16 v10, v20, v69, -v68
	v_add_f16_e32 v68, v0, v1
	v_pack_b32_f16 v19, v73, v19
	v_fma_f16 v22, -0.5, v22, v4
	v_sub_f16_e32 v69, v12, v23
	v_sub_f16_e32 v72, v5, v2
	;; [unrolled: 1-line block ×3, first 2 shown]
	v_fma_f16 v68, -0.5, v68, v15
	v_sub_f16_e32 v74, v5, v10
	v_fmamk_f16 v75, v69, 0x3b9c, v22
	v_sub_f16_e32 v76, v0, v1
	v_sub_f16_e32 v20, v12, v0
	;; [unrolled: 1-line block ×3, first 2 shown]
	v_add_f16_e32 v72, v72, v73
	v_fmamk_f16 v73, v74, 0xbb9c, v68
	v_sub_f16_e32 v78, v2, v3
	v_fmac_f16_e32 v75, 0x38b4, v76
	v_sub_f16_e32 v79, v14, v16
	v_sub_f16_e32 v80, v18, v17
	v_add_f16_e32 v20, v20, v77
	v_fmac_f16_e32 v73, 0xb8b4, v78
	v_fmac_f16_e32 v75, 0x34f2, v72
	v_sub_f16_e32 v77, v13, v6
	v_sub_f16_e32 v81, v8, v7
	;; [unrolled: 1-line block ×4, first 2 shown]
	v_add_f16_e32 v79, v79, v80
	v_fmac_f16_e32 v73, 0x34f2, v20
	v_mul_f16_e32 v80, 0xb8b4, v75
	v_mul_f16_e32 v75, 0x3a79, v75
	v_add_f16_e32 v77, v77, v81
	v_lshrrev_b32_e32 v81, 16, v70
	v_add_f16_e32 v85, v16, v17
	v_fmac_f16_e32 v80, 0x3a79, v73
	v_fmac_f16_e32 v75, 0x38b4, v73
	v_pack_b32_f16 v11, v11, v71
	v_add_f16_e32 v73, v81, v13
	v_add_f16_e32 v71, v14, v18
	;; [unrolled: 1-line block ×3, first 2 shown]
	v_fma_f16 v85, -0.5, v85, v70
	v_sub_f16_e32 v90, v6, v7
	v_add_f16_e32 v73, v73, v6
	v_fmac_f16_e32 v70, -0.5, v71
	v_add_f16_e32 v86, v6, v7
	v_sub_f16_e32 v87, v13, v8
	v_sub_f16_e32 v88, v14, v18
	v_add_f16_e32 v73, v73, v7
	ds_write2_b32 v67, v19, v9 offset0:18 offset1:21
	ds_write2_b32 v67, v21, v11 offset0:24 offset1:27
	v_sub_f16_e32 v9, v16, v14
	v_sub_f16_e32 v11, v17, v18
	v_fmamk_f16 v14, v90, 0x3b9c, v70
	v_fmac_f16_e32 v70, 0xbb9c, v90
	v_sub_f16_e32 v6, v6, v13
	v_sub_f16_e32 v7, v7, v8
	v_add_f16_e32 v83, v15, v12
	v_add_f16_e32 v84, v4, v5
	v_add_f16_e32 v9, v9, v11
	v_fmac_f16_e32 v14, 0xb8b4, v87
	v_fmac_f16_e32 v70, 0x38b4, v87
	v_add_f16_e32 v6, v6, v7
	v_add_f16_e32 v7, v5, v10
	;; [unrolled: 1-line block ×4, first 2 shown]
	v_fmac_f16_e32 v14, 0x34f2, v9
	v_fmac_f16_e32 v70, 0x34f2, v9
	v_add_f16_e32 v9, v12, v23
	v_fmac_f16_e32 v4, -0.5, v7
	v_add_f16_e32 v82, v82, v16
	v_sub_f16_e32 v92, v16, v17
	v_add_f16_e32 v83, v83, v1
	v_add_f16_e32 v84, v84, v3
	;; [unrolled: 1-line block ×3, first 2 shown]
	v_fmac_f16_e32 v15, -0.5, v9
	v_sub_f16_e32 v0, v0, v12
	v_sub_f16_e32 v1, v1, v23
	;; [unrolled: 1-line block ×4, first 2 shown]
	v_fmamk_f16 v5, v76, 0xbb9c, v4
	v_fmac_f16_e32 v4, 0x3b9c, v76
	v_fmac_f16_e32 v22, 0xbb9c, v69
	v_fma_f16 v86, -0.5, v86, v81
	v_fmac_f16_e32 v81, -0.5, v16
	v_fmac_f16_e32 v68, 0x3b9c, v74
	v_fmamk_f16 v9, v78, 0x3b9c, v15
	v_fmac_f16_e32 v15, 0xbb9c, v78
	v_add_f16_e32 v0, v0, v1
	v_add_f16_e32 v1, v2, v3
	v_fmac_f16_e32 v5, 0x38b4, v69
	v_fmac_f16_e32 v4, 0xb8b4, v69
	;; [unrolled: 1-line block ×3, first 2 shown]
	v_fmamk_f16 v89, v87, 0xbb9c, v85
	v_fmamk_f16 v91, v88, 0x3b9c, v86
	v_add_f16_e32 v73, v73, v8
	v_fmac_f16_e32 v85, 0x3b9c, v87
	v_fmac_f16_e32 v86, 0xbb9c, v88
	v_fmamk_f16 v8, v92, 0xbb9c, v81
	v_fmac_f16_e32 v81, 0x3b9c, v92
	v_fmac_f16_e32 v68, 0x38b4, v78
	;; [unrolled: 1-line block ×7, first 2 shown]
	v_add_f16_e32 v82, v82, v17
	v_fmac_f16_e32 v89, 0xb8b4, v90
	v_fmac_f16_e32 v91, 0x38b4, v92
	;; [unrolled: 1-line block ×8, first 2 shown]
	v_mul_f16_e32 v2, 0xbb9c, v5
	v_fmac_f16_e32 v15, 0x34f2, v0
	v_mul_f16_e32 v0, 0x34f2, v5
	v_mul_f16_e32 v1, 0xbb9c, v4
	;; [unrolled: 1-line block ×5, first 2 shown]
	v_mul_lo_u16 v12, 0x89, v63
	v_add_f16_e32 v82, v82, v18
	v_add_f16_e32 v83, v83, v23
	;; [unrolled: 1-line block ×3, first 2 shown]
	v_fmac_f16_e32 v89, 0x34f2, v79
	v_fmac_f16_e32 v91, 0x34f2, v77
	;; [unrolled: 1-line block ×12, first 2 shown]
	v_lshrrev_b16 v67, 12, v12
	v_add_f16_e32 v93, v82, v83
	v_add_f16_e32 v94, v73, v84
	;; [unrolled: 1-line block ×4, first 2 shown]
	v_sub_f16_e32 v6, v82, v83
	v_add_f16_e32 v9, v14, v2
	v_sub_f16_e32 v2, v14, v2
	v_add_f16_e32 v10, v70, v1
	;; [unrolled: 2-line block ×3, first 2 shown]
	v_sub_f16_e32 v4, v85, v4
	v_sub_f16_e32 v13, v73, v84
	v_add_f16_e32 v15, v8, v0
	v_sub_f16_e32 v0, v8, v0
	v_add_f16_e32 v8, v81, v3
	;; [unrolled: 2-line block ×3, first 2 shown]
	v_sub_f16_e32 v5, v86, v5
	v_sub_f16_e32 v7, v89, v80
	;; [unrolled: 1-line block ×3, first 2 shown]
	v_mul_lo_u16 v16, v67, 30
	v_pack_b32_f16 v66, v93, v94
	v_pack_b32_f16 v93, v95, v96
	;; [unrolled: 1-line block ×9, first 2 shown]
	v_mul_lo_u16 v4, 0x89, v64
	v_sub_nc_u16 v68, v24, v16
	v_pack_b32_f16 v7, v7, v14
	ds_write2_b32 v65, v66, v93 offset1:3
	ds_write2_b32 v65, v9, v8 offset0:6 offset1:9
	ds_write2_b32 v65, v10, v6 offset0:12 offset1:15
	;; [unrolled: 1-line block ×4, first 2 shown]
	v_lshrrev_b16 v65, 12, v4
	v_mul_u32_u24_sdwa v3, v68, v62 dst_sel:DWORD dst_unused:UNUSED_PAD src0_sel:BYTE_0 src1_sel:DWORD
	s_waitcnt lgkmcnt(0)
	s_barrier
	buffer_gl0_inv
	v_mul_lo_u16 v4, v65, 30
	v_lshlrev_b32_e32 v70, 2, v3
	v_mov_b32_e32 v5, 0x8889
	v_lshlrev_b32_sdwa v68, v59, v68 dst_sel:DWORD dst_unused:UNUSED_PAD src0_sel:DWORD src1_sel:BYTE_0
	v_sub_nc_u16 v66, v26, v4
	global_load_dwordx4 v[0:3], v70, s[8:9] offset:108
	v_mul_u32_u24_sdwa v4, v66, v62 dst_sel:DWORD dst_unused:UNUSED_PAD src0_sel:BYTE_0 src1_sel:DWORD
	v_lshlrev_b32_sdwa v66, v59, v66 dst_sel:DWORD dst_unused:UNUSED_PAD src0_sel:DWORD src1_sel:BYTE_0
	v_lshlrev_b32_e32 v69, 2, v4
	v_mul_u32_u24_sdwa v4, v38, v5 dst_sel:DWORD dst_unused:UNUSED_PAD src0_sel:WORD_0 src1_sel:DWORD
	global_load_dwordx4 v[16:19], v69, s[8:9] offset:108
	v_lshrrev_b32_e32 v63, 20, v4
	v_mul_lo_u16 v4, v63, 30
	v_sub_nc_u16 v64, v38, v4
	v_mul_u32_u24_sdwa v4, v64, v62 dst_sel:DWORD dst_unused:UNUSED_PAD src0_sel:WORD_0 src1_sel:DWORD
	v_lshlrev_b32_e32 v62, 2, v4
	s_clause 0x4
	global_load_dwordx4 v[8:11], v62, s[8:9] offset:108
	global_load_dwordx4 v[4:7], v70, s[8:9] offset:124
	;; [unrolled: 1-line block ×4, first 2 shown]
	global_load_dword v70, v70, s[8:9] offset:140
	ds_read_b32 v73, v58
	ds_read_b32 v72, v57
	ds_read_b32 v71, v56
	ds_read_b32 v74, v54
	s_clause 0x1
	global_load_dword v69, v69, s[8:9] offset:140
	global_load_dword v62, v62, s[8:9] offset:140
	ds_read2_b32 v[75:76], v50 offset0:56 offset1:146
	ds_read2_b32 v[79:80], v52 offset0:132 offset1:222
	ds_read_b32 v110, v55
	s_waitcnt lgkmcnt(6)
	v_lshrrev_b32_e32 v77, 16, v73
	s_waitcnt lgkmcnt(5)
	v_lshrrev_b32_e32 v82, 16, v72
	s_waitcnt vmcnt(8)
	v_mul_f16_sdwa v81, v0, v77 dst_sel:DWORD dst_unused:UNUSED_PAD src0_sel:WORD_1 src1_sel:DWORD
	v_mul_f16_sdwa v78, v0, v73 dst_sel:DWORD dst_unused:UNUSED_PAD src0_sel:WORD_1 src1_sel:DWORD
	;; [unrolled: 1-line block ×4, first 2 shown]
	v_fmac_f16_e32 v81, v0, v73
	v_fma_f16 v73, v0, v77, -v78
	s_waitcnt lgkmcnt(4)
	v_lshrrev_b32_e32 v0, 16, v71
	ds_read2_b32 v[77:78], v61 offset0:104 offset1:194
	ds_read2_b32 v[60:61], v60 offset0:118 offset1:208
	v_fmac_f16_e32 v83, v1, v72
	s_waitcnt lgkmcnt(4)
	v_lshrrev_b32_e32 v72, 16, v76
	v_mul_f16_sdwa v85, v2, v0 dst_sel:DWORD dst_unused:UNUSED_PAD src0_sel:WORD_1 src1_sel:DWORD
	v_fma_f16 v82, v1, v82, -v84
	v_lshrrev_b32_e32 v1, 16, v75
	s_waitcnt vmcnt(7)
	v_mul_f16_sdwa v88, v76, v19 dst_sel:DWORD dst_unused:UNUSED_PAD src0_sel:DWORD src1_sel:WORD_1
	v_mul_f16_sdwa v87, v72, v19 dst_sel:DWORD dst_unused:UNUSED_PAD src0_sel:DWORD src1_sel:WORD_1
	v_fmac_f16_e32 v85, v2, v71
	v_mul_f16_sdwa v71, v2, v71 dst_sel:DWORD dst_unused:UNUSED_PAD src0_sel:WORD_1 src1_sel:DWORD
	v_mul_f16_sdwa v84, v75, v3 dst_sel:DWORD dst_unused:UNUSED_PAD src0_sel:DWORD src1_sel:WORD_1
	v_mul_f16_sdwa v86, v1, v3 dst_sel:DWORD dst_unused:UNUSED_PAD src0_sel:DWORD src1_sel:WORD_1
	v_fmac_f16_e32 v87, v76, v19
	v_fma_f16 v88, v72, v19, -v88
	v_fma_f16 v89, v2, v0, -v71
	s_waitcnt lgkmcnt(3)
	v_lshrrev_b32_e32 v19, 16, v79
	v_mul_f16_sdwa v71, v79, v18 dst_sel:DWORD dst_unused:UNUSED_PAD src0_sel:DWORD src1_sel:WORD_1
	v_fma_f16 v84, v1, v3, -v84
	v_fmac_f16_e32 v86, v75, v3
	s_waitcnt lgkmcnt(1)
	v_lshrrev_b32_e32 v0, 16, v77
	s_waitcnt lgkmcnt(0)
	v_lshrrev_b32_e32 v2, 16, v60
	v_mul_f16_sdwa v3, v60, v17 dst_sel:DWORD dst_unused:UNUSED_PAD src0_sel:DWORD src1_sel:WORD_1
	v_fma_f16 v94, v19, v18, -v71
	ds_read2_b32 v[71:72], v39 offset0:108 offset1:198
	v_mul_f16_sdwa v1, v77, v16 dst_sel:DWORD dst_unused:UNUSED_PAD src0_sel:DWORD src1_sel:WORD_1
	v_mul_f16_sdwa v91, v0, v16 dst_sel:DWORD dst_unused:UNUSED_PAD src0_sel:DWORD src1_sel:WORD_1
	v_fma_f16 v92, v2, v17, -v3
	v_mul_f16_sdwa v93, v2, v17 dst_sel:DWORD dst_unused:UNUSED_PAD src0_sel:DWORD src1_sel:WORD_1
	v_mul_f16_sdwa v95, v19, v18 dst_sel:DWORD dst_unused:UNUSED_PAD src0_sel:DWORD src1_sel:WORD_1
	v_lshrrev_b32_e32 v2, 16, v61
	v_fma_f16 v90, v0, v16, -v1
	v_lshrrev_b32_e32 v1, 16, v78
	v_fmac_f16_e32 v91, v77, v16
	v_fmac_f16_e32 v93, v60, v17
	v_lshrrev_b32_e32 v17, 16, v80
	s_waitcnt vmcnt(6)
	v_mul_f16_sdwa v16, v2, v9 dst_sel:DWORD dst_unused:UNUSED_PAD src0_sel:DWORD src1_sel:WORD_1
	ds_read2_b32 v[75:76], v49 offset0:84 offset1:174
	v_fmac_f16_e32 v95, v79, v18
	v_mul_f16_sdwa v60, v78, v8 dst_sel:DWORD dst_unused:UNUSED_PAD src0_sel:DWORD src1_sel:WORD_1
	ds_read2_b32 v[18:19], v53 offset0:8 offset1:98
	v_mul_f16_sdwa v0, v1, v8 dst_sel:DWORD dst_unused:UNUSED_PAD src0_sel:DWORD src1_sel:WORD_1
	v_mul_f16_sdwa v3, v17, v10 dst_sel:DWORD dst_unused:UNUSED_PAD src0_sel:DWORD src1_sel:WORD_1
	v_fmac_f16_e32 v16, v61, v9
	v_mul_f16_sdwa v77, v61, v9 dst_sel:DWORD dst_unused:UNUSED_PAD src0_sel:DWORD src1_sel:WORD_1
	v_fma_f16 v1, v1, v8, -v60
	ds_read2_b32 v[60:61], v44 offset0:112 offset1:202
	v_fmac_f16_e32 v0, v78, v8
	v_fmac_f16_e32 v3, v80, v10
	v_mul_f16_sdwa v78, v80, v10 dst_sel:DWORD dst_unused:UNUSED_PAD src0_sel:DWORD src1_sel:WORD_1
	s_waitcnt lgkmcnt(3)
	v_lshrrev_b32_e32 v79, 16, v71
	v_lshrrev_b32_e32 v80, 16, v72
	v_fma_f16 v8, v2, v9, -v77
	v_mul_f16_sdwa v9, v71, v11 dst_sel:DWORD dst_unused:UNUSED_PAD src0_sel:DWORD src1_sel:WORD_1
	v_fma_f16 v2, v17, v10, -v78
	v_mul_f16_sdwa v10, v79, v11 dst_sel:DWORD dst_unused:UNUSED_PAD src0_sel:DWORD src1_sel:WORD_1
	s_waitcnt vmcnt(5)
	v_mul_f16_sdwa v96, v80, v4 dst_sel:DWORD dst_unused:UNUSED_PAD src0_sel:DWORD src1_sel:WORD_1
	v_mul_f16_sdwa v17, v72, v4 dst_sel:DWORD dst_unused:UNUSED_PAD src0_sel:DWORD src1_sel:WORD_1
	s_waitcnt lgkmcnt(2)
	v_lshrrev_b32_e32 v77, 16, v75
	v_mul_f16_sdwa v78, v75, v5 dst_sel:DWORD dst_unused:UNUSED_PAD src0_sel:DWORD src1_sel:WORD_1
	v_fma_f16 v9, v79, v11, -v9
	v_fmac_f16_e32 v10, v71, v11
	v_fmac_f16_e32 v96, v72, v4
	v_fma_f16 v79, v80, v4, -v17
	s_waitcnt lgkmcnt(1)
	v_lshrrev_b32_e32 v4, 16, v19
	v_mul_f16_sdwa v11, v19, v6 dst_sel:DWORD dst_unused:UNUSED_PAD src0_sel:DWORD src1_sel:WORD_1
	ds_read2_b32 v[71:72], v27 offset0:160 offset1:250
	v_fma_f16 v80, v77, v5, -v78
	v_mul_f16_sdwa v97, v77, v5 dst_sel:DWORD dst_unused:UNUSED_PAD src0_sel:DWORD src1_sel:WORD_1
	s_waitcnt lgkmcnt(1)
	v_lshrrev_b32_e32 v17, 16, v60
	ds_read2_b32 v[77:78], v51 offset0:60 offset1:150
	v_fma_f16 v99, v4, v6, -v11
	v_lshrrev_b32_e32 v11, 16, v61
	v_mul_f16_sdwa v100, v4, v6 dst_sel:DWORD dst_unused:UNUSED_PAD src0_sel:DWORD src1_sel:WORD_1
	v_mul_f16_sdwa v101, v17, v7 dst_sel:DWORD dst_unused:UNUSED_PAD src0_sel:DWORD src1_sel:WORD_1
	;; [unrolled: 1-line block ×3, first 2 shown]
	v_lshrrev_b32_e32 v4, 16, v76
	s_waitcnt vmcnt(4)
	v_mul_f16_sdwa v102, v11, v23 dst_sel:DWORD dst_unused:UNUSED_PAD src0_sel:DWORD src1_sel:WORD_1
	v_fmac_f16_e32 v97, v75, v5
	v_fmac_f16_e32 v100, v19, v6
	v_mul_f16_sdwa v5, v76, v21 dst_sel:DWORD dst_unused:UNUSED_PAD src0_sel:DWORD src1_sel:WORD_1
	v_fmac_f16_e32 v101, v60, v7
	v_fmac_f16_e32 v102, v61, v23
	v_mul_f16_sdwa v6, v61, v23 dst_sel:DWORD dst_unused:UNUSED_PAD src0_sel:DWORD src1_sel:WORD_1
	ds_read2_b32 v[60:61], v32 offset0:36 offset1:126
	v_mul_f16_sdwa v75, v4, v21 dst_sel:DWORD dst_unused:UNUSED_PAD src0_sel:DWORD src1_sel:WORD_1
	v_fma_f16 v19, v4, v21, -v5
	s_waitcnt lgkmcnt(2)
	v_lshrrev_b32_e32 v4, 16, v71
	v_mul_f16_sdwa v5, v71, v20 dst_sel:DWORD dst_unused:UNUSED_PAD src0_sel:DWORD src1_sel:WORD_1
	v_fma_f16 v98, v17, v7, -v98
	v_fmac_f16_e32 v75, v76, v21
	s_waitcnt lgkmcnt(1)
	v_lshrrev_b32_e32 v7, 16, v77
	v_mul_f16_sdwa v17, v77, v22 dst_sel:DWORD dst_unused:UNUSED_PAD src0_sel:DWORD src1_sel:WORD_1
	v_fma_f16 v21, v11, v23, -v6
	v_fma_f16 v23, v4, v20, -v5
	v_mul_f16_sdwa v76, v4, v20 dst_sel:DWORD dst_unused:UNUSED_PAD src0_sel:DWORD src1_sel:WORD_1
	v_lshrrev_b32_e32 v5, 16, v72
	v_lshrrev_b32_e32 v11, 16, v18
	v_fma_f16 v103, v7, v22, -v17
	v_mul_f16_sdwa v104, v7, v22 dst_sel:DWORD dst_unused:UNUSED_PAD src0_sel:DWORD src1_sel:WORD_1
	v_fmac_f16_e32 v76, v71, v20
	s_waitcnt vmcnt(3)
	v_mul_f16_sdwa v4, v5, v12 dst_sel:DWORD dst_unused:UNUSED_PAD src0_sel:DWORD src1_sel:WORD_1
	v_mul_f16_sdwa v17, v11, v13 dst_sel:DWORD dst_unused:UNUSED_PAD src0_sel:DWORD src1_sel:WORD_1
	;; [unrolled: 1-line block ×3, first 2 shown]
	s_waitcnt lgkmcnt(0)
	v_lshrrev_b32_e32 v71, 16, v60
	v_lshrrev_b32_e32 v7, 16, v78
	v_fmac_f16_e32 v4, v72, v12
	v_fmac_f16_e32 v17, v18, v13
	v_mul_f16_sdwa v18, v18, v13 dst_sel:DWORD dst_unused:UNUSED_PAD src0_sel:DWORD src1_sel:WORD_1
	v_fma_f16 v5, v5, v12, -v20
	v_mul_f16_sdwa v12, v60, v15 dst_sel:DWORD dst_unused:UNUSED_PAD src0_sel:DWORD src1_sel:WORD_1
	v_lshrrev_b32_e32 v72, 16, v61
	v_fmac_f16_e32 v104, v77, v22
	v_fma_f16 v11, v11, v13, -v18
	v_mul_f16_sdwa v13, v71, v15 dst_sel:DWORD dst_unused:UNUSED_PAD src0_sel:DWORD src1_sel:WORD_1
	v_fma_f16 v12, v71, v15, -v12
	ds_read_b32 v71, v40
	s_waitcnt vmcnt(2)
	v_mul_f16_sdwa v18, v72, v70 dst_sel:DWORD dst_unused:UNUSED_PAD src0_sel:DWORD src1_sel:WORD_1
	v_mul_f16_sdwa v6, v7, v14 dst_sel:DWORD dst_unused:UNUSED_PAD src0_sel:DWORD src1_sel:WORD_1
	;; [unrolled: 1-line block ×4, first 2 shown]
	v_fmac_f16_e32 v13, v60, v15
	v_fmac_f16_e32 v18, v61, v70
	v_add_f16_e32 v15, v79, v99
	v_fmac_f16_e32 v6, v78, v14
	v_fma_f16 v7, v7, v14, -v22
	v_fma_f16 v14, v72, v70, -v20
	v_add_f16_e32 v61, v96, v100
	v_fma_f16 v70, -0.5, v15, v73
	v_sub_f16_e32 v15, v85, v18
	v_sub_f16_e32 v72, v89, v79
	;; [unrolled: 1-line block ×3, first 2 shown]
	v_fma_f16 v61, -0.5, v61, v81
	v_sub_f16_e32 v78, v89, v14
	v_fmamk_f16 v105, v15, 0x3b9c, v70
	v_sub_f16_e32 v106, v96, v100
	s_waitcnt lgkmcnt(0)
	v_lshrrev_b32_e32 v111, 16, v71
	v_add_f16_e32 v112, v71, v83
	v_add_f16_e32 v114, v81, v85
	;; [unrolled: 1-line block ×3, first 2 shown]
	v_sub_f16_e32 v20, v83, v86
	v_add_f16_e32 v113, v111, v82
	v_sub_f16_e32 v22, v101, v97
	v_sub_f16_e32 v60, v85, v96
	;; [unrolled: 1-line block ×3, first 2 shown]
	v_add_f16_e32 v72, v72, v77
	v_fmamk_f16 v77, v78, 0xbb9c, v61
	v_sub_f16_e32 v108, v79, v99
	v_fmac_f16_e32 v105, 0x38b4, v106
	v_add_f16_e32 v112, v112, v86
	v_add_f16_e32 v113, v113, v84
	;; [unrolled: 1-line block ×4, first 2 shown]
	v_sub_f16_e32 v109, v82, v84
	v_add_f16_e32 v60, v60, v107
	v_sub_f16_e32 v107, v98, v80
	v_fmac_f16_e32 v77, 0xb8b4, v108
	v_fmac_f16_e32 v105, 0x34f2, v72
	v_add_f16_e32 v20, v20, v22
	v_mov_b32_e32 v22, 0x4b0
	v_add_f16_e32 v112, v112, v97
	v_add_f16_e32 v113, v113, v80
	;; [unrolled: 1-line block ×5, first 2 shown]
	v_fmac_f16_e32 v77, 0x34f2, v60
	v_mul_f16_e32 v109, 0xb8b4, v105
	v_mul_f16_e32 v105, 0x3a79, v105
	v_mul_u32_u24_sdwa v67, v67, v22 dst_sel:DWORD dst_unused:UNUSED_PAD src0_sel:WORD_0 src1_sel:DWORD
	v_add_f16_e32 v112, v112, v101
	v_add_f16_e32 v113, v113, v98
	;; [unrolled: 1-line block ×4, first 2 shown]
	v_fmac_f16_e32 v109, 0x3a79, v77
	v_fmac_f16_e32 v105, 0x38b4, v77
	v_add3_u32 v67, 0, v67, v68
	v_add_f16_e32 v68, v112, v114
	v_add_f16_e32 v77, v113, v115
	v_sub_f16_e32 v116, v86, v97
	v_sub_f16_e32 v117, v83, v101
	v_sub_f16_e32 v120, v84, v80
	v_sub_f16_e32 v118, v82, v98
	v_pack_b32_f16 v68, v68, v77
	v_add_f16_e32 v77, v86, v97
	v_sub_f16_e32 v86, v86, v83
	v_add_f16_e32 v83, v83, v101
	v_sub_f16_e32 v97, v97, v101
	v_add_f16_e32 v101, v84, v80
	v_fma_f16 v77, -0.5, v77, v71
	v_sub_f16_e32 v84, v84, v82
	v_fmac_f16_e32 v71, -0.5, v83
	v_add_f16_e32 v83, v86, v97
	v_sub_f16_e32 v80, v80, v98
	v_add_f16_e32 v82, v82, v98
	v_sub_f16_e32 v79, v79, v89
	v_fmamk_f16 v86, v120, 0x3b9c, v71
	v_fmac_f16_e32 v71, 0xbb9c, v120
	v_add_f16_e32 v80, v84, v80
	v_add_f16_e32 v84, v89, v14
	v_sub_f16_e32 v14, v99, v14
	v_fmac_f16_e32 v86, 0xb8b4, v118
	v_fmac_f16_e32 v71, 0x38b4, v118
	;; [unrolled: 1-line block ×3, first 2 shown]
	v_fmac_f16_e32 v73, -0.5, v84
	v_fma_f16 v101, -0.5, v101, v111
	v_fmac_f16_e32 v86, 0x34f2, v83
	v_fmac_f16_e32 v71, 0x34f2, v83
	v_add_f16_e32 v83, v85, v18
	v_fmac_f16_e32 v111, -0.5, v82
	v_sub_f16_e32 v82, v96, v85
	v_sub_f16_e32 v18, v100, v18
	v_add_f16_e32 v14, v79, v14
	v_fmac_f16_e32 v81, -0.5, v83
	v_fmamk_f16 v83, v106, 0xbb9c, v73
	v_fmac_f16_e32 v73, 0x3b9c, v106
	v_fmac_f16_e32 v61, 0x3b9c, v78
	;; [unrolled: 1-line block ×3, first 2 shown]
	v_fmamk_f16 v79, v108, 0x3b9c, v81
	v_fmac_f16_e32 v81, 0xbb9c, v108
	v_fmac_f16_e32 v83, 0x38b4, v15
	;; [unrolled: 1-line block ×3, first 2 shown]
	v_fmamk_f16 v119, v118, 0xbb9c, v77
	v_fmamk_f16 v121, v117, 0x3b9c, v101
	;; [unrolled: 1-line block ×3, first 2 shown]
	v_fmac_f16_e32 v111, 0x3b9c, v116
	v_add_f16_e32 v18, v82, v18
	v_fmac_f16_e32 v79, 0xb8b4, v78
	v_fmac_f16_e32 v81, 0x38b4, v78
	;; [unrolled: 1-line block ×14, first 2 shown]
	v_mul_f16_e32 v18, 0xbb9c, v83
	v_mul_f16_e32 v82, 0x34f2, v83
	;; [unrolled: 1-line block ×4, first 2 shown]
	ds_read2_b32 v[14:15], v48 offset0:88 offset1:178
	v_fmac_f16_e32 v77, 0x38b4, v120
	v_fmac_f16_e32 v101, 0xb8b4, v116
	;; [unrolled: 1-line block ×3, first 2 shown]
	v_mul_f16_e32 v60, 0xb8b4, v70
	v_mul_f16_e32 v70, 0xba79, v70
	v_fmac_f16_e32 v119, 0x34f2, v20
	v_fmac_f16_e32 v121, 0x34f2, v107
	;; [unrolled: 1-line block ×12, first 2 shown]
	v_add_f16_e32 v122, v119, v109
	v_add_f16_e32 v123, v121, v105
	;; [unrolled: 1-line block ×6, first 2 shown]
	v_sub_f16_e32 v79, v112, v114
	v_add_f16_e32 v80, v77, v60
	v_add_f16_e32 v81, v101, v70
	v_sub_f16_e32 v85, v113, v115
	v_pack_b32_f16 v122, v122, v123
	v_pack_b32_f16 v72, v72, v78
	;; [unrolled: 1-line block ×5, first 2 shown]
	v_sub_f16_e32 v79, v119, v109
	v_sub_f16_e32 v18, v86, v18
	;; [unrolled: 1-line block ×4, first 2 shown]
	s_waitcnt vmcnt(0) lgkmcnt(0)
	s_barrier
	buffer_gl0_inv
	ds_write2_b32 v67, v68, v122 offset1:30
	ds_write2_b32 v67, v72, v20 offset0:60 offset1:90
	ds_write2_b32 v67, v61, v78 offset0:120 offset1:150
	v_pack_b32_f16 v20, v79, v80
	v_pack_b32_f16 v18, v18, v81
	v_sub_f16_e32 v61, v71, v83
	v_lshrrev_b32_e32 v71, 16, v14
	v_sub_f16_e32 v68, v111, v73
	v_sub_f16_e32 v60, v77, v60
	ds_write2_b32 v67, v20, v18 offset0:180 offset1:210
	v_sub_f16_e32 v70, v101, v70
	v_mul_f16_sdwa v20, v71, v69 dst_sel:DWORD dst_unused:UNUSED_PAD src0_sel:DWORD src1_sel:WORD_1
	v_pack_b32_f16 v18, v61, v68
	v_mul_f16_sdwa v61, v14, v69 dst_sel:DWORD dst_unused:UNUSED_PAD src0_sel:DWORD src1_sel:WORD_1
	v_add_f16_e32 v68, v23, v103
	v_pack_b32_f16 v60, v60, v70
	v_fmac_f16_e32 v20, v14, v69
	v_sub_f16_e32 v78, v76, v104
	v_fma_f16 v14, v71, v69, -v61
	v_add_f16_e32 v69, v76, v104
	v_fma_f16 v68, -0.5, v68, v90
	v_sub_f16_e32 v70, v95, v20
	v_sub_f16_e32 v71, v94, v23
	;; [unrolled: 1-line block ×3, first 2 shown]
	v_fma_f16 v69, -0.5, v69, v91
	v_sub_f16_e32 v73, v94, v14
	v_fmamk_f16 v77, v70, 0x3b9c, v68
	v_add_nc_u32_e32 v67, 0x200, v67
	v_sub_f16_e32 v61, v95, v76
	v_sub_f16_e32 v79, v20, v104
	v_add_f16_e32 v71, v71, v72
	v_fmamk_f16 v72, v73, 0xbb9c, v69
	v_sub_f16_e32 v80, v23, v103
	v_fmac_f16_e32 v77, 0x38b4, v78
	ds_write2_b32 v67, v18, v60 offset0:112 offset1:142
	v_sub_f16_e32 v18, v93, v87
	v_add_f16_e32 v60, v61, v79
	v_fmac_f16_e32 v72, 0xb8b4, v80
	v_fmac_f16_e32 v77, 0x34f2, v71
	v_sub_f16_e32 v61, v102, v75
	v_sub_f16_e32 v67, v92, v88
	;; [unrolled: 1-line block ×3, first 2 shown]
	v_fmac_f16_e32 v72, 0x34f2, v60
	v_mul_f16_e32 v81, 0xb8b4, v77
	v_mul_f16_e32 v77, 0x3a79, v77
	v_add_f16_e32 v18, v18, v61
	v_lshrrev_b32_e32 v61, 16, v110
	v_add_f16_e32 v67, v67, v79
	v_fmac_f16_e32 v81, 0x3a79, v72
	v_fmac_f16_e32 v77, 0x38b4, v72
	v_add_f16_e32 v72, v110, v93
	v_add_f16_e32 v79, v61, v92
	;; [unrolled: 1-line block ×3, first 2 shown]
	v_mul_u32_u24_sdwa v22, v65, v22 dst_sel:DWORD dst_unused:UNUSED_PAD src0_sel:WORD_0 src1_sel:DWORD
	v_add_f16_e32 v65, v90, v94
	v_add_f16_e32 v72, v72, v87
	;; [unrolled: 1-line block ×14, first 2 shown]
	v_fma_f16 v83, -0.5, v83, v110
	v_add_f16_e32 v65, v65, v14
	v_sub_f16_e32 v96, v88, v19
	v_fmac_f16_e32 v110, -0.5, v101
	v_add_f16_e32 v99, v72, v82
	v_sub_f16_e32 v85, v92, v21
	v_add_f16_e32 v100, v79, v65
	v_sub_f16_e32 v98, v87, v75
	v_add3_u32 v22, 0, v22, v66
	v_sub_f16_e32 v87, v87, v93
	v_sub_f16_e32 v75, v75, v102
	v_pack_b32_f16 v66, v99, v100
	v_fmamk_f16 v99, v96, 0x3b9c, v110
	v_fmac_f16_e32 v110, 0xbb9c, v96
	v_add_f16_e32 v84, v88, v19
	v_add_f16_e32 v75, v87, v75
	v_sub_f16_e32 v87, v88, v92
	v_fmac_f16_e32 v99, 0xb8b4, v85
	v_fmac_f16_e32 v110, 0x38b4, v85
	v_sub_f16_e32 v19, v19, v21
	v_add_f16_e32 v88, v92, v21
	v_fma_f16 v84, -0.5, v84, v61
	v_fmac_f16_e32 v99, 0x34f2, v75
	v_fmac_f16_e32 v110, 0x34f2, v75
	v_sub_f16_e32 v75, v76, v95
	v_add_f16_e32 v76, v94, v14
	v_add_f16_e32 v19, v87, v19
	;; [unrolled: 1-line block ×3, first 2 shown]
	v_sub_f16_e32 v86, v93, v102
	v_fmac_f16_e32 v61, -0.5, v88
	v_fmac_f16_e32 v90, -0.5, v76
	v_sub_f16_e32 v23, v23, v94
	v_fmac_f16_e32 v91, -0.5, v87
	v_sub_f16_e32 v14, v103, v14
	v_fmamk_f16 v89, v85, 0xbb9c, v83
	v_fmamk_f16 v76, v78, 0xbb9c, v90
	v_fmac_f16_e32 v90, 0x3b9c, v78
	v_fmamk_f16 v97, v86, 0x3b9c, v84
	v_fmac_f16_e32 v68, 0xbb9c, v70
	v_sub_f16_e32 v20, v104, v20
	v_fmamk_f16 v88, v98, 0xbb9c, v61
	v_fmac_f16_e32 v61, 0x3b9c, v98
	v_fmamk_f16 v87, v80, 0x3b9c, v91
	v_add_f16_e32 v14, v23, v14
	v_fmac_f16_e32 v76, 0x38b4, v70
	v_fmac_f16_e32 v91, 0xbb9c, v80
	;; [unrolled: 1-line block ×9, first 2 shown]
	v_add_f16_e32 v20, v75, v20
	v_fmac_f16_e32 v87, 0xb8b4, v73
	v_fmac_f16_e32 v76, 0x34f2, v14
	;; [unrolled: 1-line block ×12, first 2 shown]
	v_mul_f16_e32 v14, 0xbb9c, v76
	v_fmac_f16_e32 v61, 0x34f2, v19
	v_fmac_f16_e32 v91, 0x34f2, v20
	v_mul_f16_e32 v19, 0x34f2, v76
	v_mul_f16_e32 v20, 0xbb9c, v90
	;; [unrolled: 1-line block ×3, first 2 shown]
	v_add_f16_e32 v93, v89, v81
	v_add_f16_e32 v100, v97, v77
	v_fmac_f16_e32 v83, 0x38b4, v96
	v_fmac_f16_e32 v84, 0xb8b4, v98
	;; [unrolled: 1-line block ×3, first 2 shown]
	v_mul_f16_e32 v60, 0xb8b4, v68
	v_mul_f16_e32 v68, 0xba79, v68
	v_fmac_f16_e32 v14, 0x34f2, v87
	v_fmac_f16_e32 v19, 0x3b9c, v87
	;; [unrolled: 1-line block ×4, first 2 shown]
	v_pack_b32_f16 v21, v93, v100
	v_fmac_f16_e32 v83, 0x34f2, v18
	v_fmac_f16_e32 v84, 0x34f2, v67
	;; [unrolled: 1-line block ×4, first 2 shown]
	v_add_f16_e32 v70, v99, v14
	v_add_f16_e32 v71, v88, v19
	;; [unrolled: 1-line block ×4, first 2 shown]
	ds_write2_b32 v22, v66, v21 offset1:30
	v_add_f16_e32 v21, v83, v60
	v_add_f16_e32 v66, v84, v68
	v_pack_b32_f16 v69, v70, v71
	v_pack_b32_f16 v18, v18, v67
	v_sub_f16_e32 v67, v72, v82
	v_sub_f16_e32 v65, v79, v65
	v_pack_b32_f16 v21, v21, v66
	v_sub_f16_e32 v66, v89, v81
	v_sub_f16_e32 v14, v99, v14
	;; [unrolled: 1-line block ×8, first 2 shown]
	v_pack_b32_f16 v65, v67, v65
	ds_write2_b32 v22, v69, v18 offset0:60 offset1:90
	v_lshrrev_b32_e32 v18, 16, v15
	v_pack_b32_f16 v66, v66, v70
	v_pack_b32_f16 v14, v14, v19
	;; [unrolled: 1-line block ×4, first 2 shown]
	v_add_nc_u32_e32 v23, 0x200, v22
	ds_write2_b32 v22, v21, v65 offset0:120 offset1:150
	ds_write2_b32 v22, v66, v14 offset0:180 offset1:210
	;; [unrolled: 1-line block ×3, first 2 shown]
	v_mul_f16_sdwa v19, v18, v62 dst_sel:DWORD dst_unused:UNUSED_PAD src0_sel:DWORD src1_sel:WORD_1
	v_mul_f16_sdwa v20, v15, v62 dst_sel:DWORD dst_unused:UNUSED_PAD src0_sel:DWORD src1_sel:WORD_1
	v_add_f16_e32 v14, v10, v17
	v_sub_f16_e32 v21, v16, v10
	v_sub_f16_e32 v22, v13, v17
	v_fmac_f16_e32 v19, v15, v62
	v_fma_f16 v15, v18, v62, -v20
	v_add_f16_e32 v20, v16, v13
	v_fma_f16 v14, -0.5, v14, v74
	v_sub_f16_e32 v23, v8, v12
	v_add_f16_e32 v18, v21, v22
	v_sub_f16_e32 v22, v9, v11
	v_lshrrev_b32_e32 v60, 16, v74
	v_add_f16_e32 v61, v74, v16
	v_fmac_f16_e32 v74, -0.5, v20
	v_fmamk_f16 v21, v23, 0xbb9c, v14
	v_fmac_f16_e32 v14, 0x3b9c, v23
	v_sub_f16_e32 v20, v10, v16
	v_sub_f16_e32 v62, v17, v13
	v_fmamk_f16 v65, v22, 0x3b9c, v74
	v_fmac_f16_e32 v74, 0xbb9c, v22
	v_add_f16_e32 v61, v61, v10
	v_fmac_f16_e32 v21, 0xb8b4, v22
	v_fmac_f16_e32 v14, 0x38b4, v22
	v_add_f16_e32 v20, v20, v62
	v_fmac_f16_e32 v65, 0xb8b4, v23
	;; [unrolled: 3-line block ×3, first 2 shown]
	v_fmac_f16_e32 v14, 0x34f2, v18
	v_fmac_f16_e32 v65, 0x34f2, v20
	;; [unrolled: 1-line block ×3, first 2 shown]
	v_add_f16_e32 v18, v22, v13
	v_add_f16_e32 v20, v60, v8
	;; [unrolled: 1-line block ×3, first 2 shown]
	v_sub_f16_e32 v13, v16, v13
	v_sub_f16_e32 v16, v8, v9
	;; [unrolled: 1-line block ×3, first 2 shown]
	v_add_f16_e32 v20, v20, v9
	v_fma_f16 v22, -0.5, v22, v60
	v_sub_f16_e32 v10, v10, v17
	v_add_f16_e32 v17, v8, v12
	v_add_f16_e32 v16, v16, v23
	;; [unrolled: 1-line block ×3, first 2 shown]
	v_fmamk_f16 v23, v13, 0x3b9c, v22
	v_fmac_f16_e32 v22, 0xbb9c, v13
	v_fmac_f16_e32 v60, -0.5, v17
	v_sub_f16_e32 v8, v9, v8
	v_add_f16_e32 v9, v20, v12
	v_fmac_f16_e32 v23, 0x38b4, v10
	v_fmac_f16_e32 v22, 0xb8b4, v10
	v_sub_f16_e32 v11, v11, v12
	v_fmamk_f16 v12, v10, 0xbb9c, v60
	v_fmac_f16_e32 v60, 0x3b9c, v10
	v_add_f16_e32 v10, v4, v6
	v_fmac_f16_e32 v23, 0x34f2, v16
	v_fmac_f16_e32 v22, 0x34f2, v16
	v_add_f16_e32 v8, v8, v11
	v_fmac_f16_e32 v12, 0x38b4, v13
	v_sub_f16_e32 v11, v3, v4
	v_sub_f16_e32 v16, v19, v6
	v_fma_f16 v10, -0.5, v10, v0
	v_sub_f16_e32 v17, v2, v15
	v_fmac_f16_e32 v60, 0xb8b4, v13
	v_add_f16_e32 v13, v3, v19
	v_add_f16_e32 v11, v11, v16
	;; [unrolled: 1-line block ×3, first 2 shown]
	v_fmamk_f16 v20, v17, 0xbb9c, v10
	v_sub_f16_e32 v61, v5, v7
	v_fmac_f16_e32 v0, -0.5, v13
	v_fmac_f16_e32 v10, 0x3b9c, v17
	v_sub_f16_e32 v13, v4, v3
	v_sub_f16_e32 v62, v6, v19
	v_fmac_f16_e32 v20, 0xb8b4, v61
	v_fmamk_f16 v66, v61, 0x3b9c, v0
	v_fmac_f16_e32 v0, 0xbb9c, v61
	v_fmac_f16_e32 v10, 0x38b4, v61
	v_add_f16_e32 v16, v16, v4
	v_add_f16_e32 v13, v13, v62
	v_fmac_f16_e32 v66, 0xb8b4, v17
	v_fmac_f16_e32 v0, 0x38b4, v17
	;; [unrolled: 1-line block ×4, first 2 shown]
	v_add_f16_e32 v8, v16, v6
	v_fmac_f16_e32 v20, 0x34f2, v11
	v_fmac_f16_e32 v10, 0x34f2, v11
	v_add_f16_e32 v11, v5, v7
	v_add_f16_e32 v17, v2, v15
	v_fmac_f16_e32 v66, 0x34f2, v13
	v_fmac_f16_e32 v0, 0x34f2, v13
	v_add_f16_e32 v8, v8, v19
	v_sub_f16_e32 v3, v3, v19
	v_sub_f16_e32 v13, v2, v5
	v_sub_f16_e32 v16, v15, v7
	v_add_f16_e32 v19, v1, v2
	v_fma_f16 v11, -0.5, v11, v1
	v_sub_f16_e32 v4, v4, v6
	v_fmac_f16_e32 v1, -0.5, v17
	v_add_f16_e32 v6, v13, v16
	v_add_f16_e32 v13, v19, v5
	v_fmamk_f16 v16, v3, 0x3b9c, v11
	v_sub_f16_e32 v2, v5, v2
	v_sub_f16_e32 v5, v7, v15
	v_fmamk_f16 v17, v4, 0xbb9c, v1
	v_fmac_f16_e32 v11, 0xbb9c, v3
	v_fmac_f16_e32 v1, 0x3b9c, v4
	;; [unrolled: 1-line block ×3, first 2 shown]
	v_add_f16_e32 v2, v2, v5
	v_fmac_f16_e32 v17, 0x38b4, v3
	v_fmac_f16_e32 v11, 0xb8b4, v4
	;; [unrolled: 1-line block ×4, first 2 shown]
	v_add_f16_e32 v7, v13, v7
	v_fmac_f16_e32 v17, 0x34f2, v2
	v_fmac_f16_e32 v11, 0x34f2, v6
	;; [unrolled: 1-line block ×3, first 2 shown]
	v_mul_f16_e32 v3, 0xb8b4, v16
	v_mul_f16_e32 v4, 0x3a79, v16
	;; [unrolled: 1-line block ×5, first 2 shown]
	v_add_f16_e32 v5, v7, v15
	v_mul_f16_e32 v7, 0xbb9c, v1
	v_mul_f16_e32 v1, 0xb4f2, v1
	;; [unrolled: 1-line block ×3, first 2 shown]
	v_fmac_f16_e32 v3, 0x3a79, v20
	v_fmac_f16_e32 v4, 0x38b4, v20
	;; [unrolled: 1-line block ×8, first 2 shown]
	v_add_f16_e32 v0, v18, v8
	v_sub_f16_e32 v8, v18, v8
	v_add_f16_e32 v10, v21, v3
	v_sub_f16_e32 v3, v21, v3
	;; [unrolled: 2-line block ×7, first 2 shown]
	v_mul_u32_u24_e32 v12, 0x4b0, v63
	v_lshlrev_b32_sdwa v19, v59, v64 dst_sel:DWORD dst_unused:UNUSED_PAD src0_sel:DWORD src1_sel:WORD_0
	v_add_f16_e32 v16, v74, v7
	v_add_f16_e32 v20, v60, v1
	v_sub_f16_e32 v21, v60, v1
	v_add_f16_e32 v1, v22, v11
	v_sub_f16_e32 v7, v74, v7
	v_sub_f16_e32 v11, v22, v11
	v_add3_u32 v12, 0, v12, v19
	v_pack_b32_f16 v14, v0, v14
	v_pack_b32_f16 v9, v10, v9
	;; [unrolled: 1-line block ×8, first 2 shown]
	v_lshlrev_b32_e32 v0, 1, v24
	v_mov_b32_e32 v1, 0
	ds_write2_b32 v12, v14, v9 offset1:30
	ds_write2_b32 v12, v10, v15 offset0:60 offset1:90
	ds_write2_b32 v12, v16, v5 offset0:120 offset1:150
	;; [unrolled: 1-line block ×3, first 2 shown]
	v_pack_b32_f16 v4, v7, v21
	v_pack_b32_f16 v5, v13, v11
	v_add_nc_u32_e32 v6, 0x200, v12
	v_lshlrev_b64 v[2:3], 2, v[0:1]
	v_lshlrev_b32_e32 v10, 1, v38
	v_mov_b32_e32 v11, v1
	v_add_nc_u32_e32 v13, 0x78, v0
	ds_write2_b32 v6, v4, v5 offset0:112 offset1:142
	v_lshlrev_b32_e32 v4, 1, v26
	v_mov_b32_e32 v5, v1
	v_add_co_u32 v2, s0, s8, v2
	v_add_co_ci_u32_e64 v3, s0, s9, v3, s0
	v_lshlrev_b64 v[4:5], 2, v[4:5]
	v_subrev_nc_u32_e32 v6, 30, v24
	v_cmp_gt_u32_e64 s0, 30, v24
	s_waitcnt lgkmcnt(0)
	s_barrier
	buffer_gl0_inv
	global_load_dwordx2 v[8:9], v[2:3], off offset:1188
	v_cndmask_b32_e64 v12, v6, v37, s0
	v_add_co_u32 v6, s0, s8, v4
	v_add_co_ci_u32_e64 v7, s0, s9, v5, s0
	v_lshlrev_b64 v[4:5], 2, v[10:11]
	v_lshlrev_b32_e32 v10, 1, v12
	v_mov_b32_e32 v14, v1
	global_load_dwordx2 v[17:18], v[6:7], off offset:1188
	v_mov_b32_e32 v23, 0x6d3b
	v_lshrrev_b16 v15, 2, v34
	v_add_co_u32 v4, s0, s8, v4
	v_add_co_ci_u32_e64 v5, s0, s9, v5, s0
	v_lshlrev_b64 v[10:11], 2, v[10:11]
	v_add_nc_u32_e32 v0, 0x12c, v0
	v_lshlrev_b64 v[13:14], 2, v[13:14]
	global_load_dwordx2 v[19:20], v[4:5], off offset:1188
	v_mul_u32_u24_sdwa v60, v15, v23 dst_sel:DWORD dst_unused:UNUSED_PAD src0_sel:WORD_0 src1_sel:DWORD
	v_lshrrev_b16 v62, 2, v33
	v_add_co_u32 v10, s0, s8, v10
	v_lshlrev_b64 v[21:22], 2, v[0:1]
	v_lshrrev_b16 v0, 2, v31
	v_add_co_ci_u32_e64 v11, s0, s9, v11, s0
	v_add_co_u32 v15, s0, s8, v13
	v_add_co_ci_u32_e64 v16, s0, s9, v14, s0
	v_lshrrev_b32_e32 v13, 21, v60
	v_mul_u32_u24_sdwa v0, v0, v23 dst_sel:DWORD dst_unused:UNUSED_PAD src0_sel:WORD_0 src1_sel:DWORD
	global_load_dwordx2 v[10:11], v[10:11], off offset:1188
	v_add_co_u32 v14, s0, s8, v21
	global_load_dwordx2 v[60:61], v[15:16], off offset:1188
	v_mul_lo_u16 v16, 0x12c, v13
	v_add_co_ci_u32_e64 v15, s0, s9, v22, s0
	v_lshrrev_b32_e32 v0, 21, v0
	v_mov_b32_e32 v63, 3
	v_sub_nc_u16 v16, v34, v16
	global_load_dwordx2 v[21:22], v[14:15], off offset:1188
	v_mul_u32_u24_sdwa v14, v62, v23 dst_sel:DWORD dst_unused:UNUSED_PAD src0_sel:WORD_0 src1_sel:DWORD
	v_mul_lo_u16 v0, 0x12c, v0
	v_lshrrev_b16 v64, 2, v30
	v_lshlrev_b32_sdwa v15, v63, v16 dst_sel:DWORD dst_unused:UNUSED_PAD src0_sel:DWORD src1_sel:WORD_0
	v_cmp_lt_u32_e64 s0, 29, v24
	v_lshrrev_b32_e32 v14, 21, v14
	v_sub_nc_u16 v0, v31, v0
	v_lshlrev_b32_e32 v12, 2, v12
	global_load_dwordx2 v[62:63], v15, s[8:9] offset:1188
	v_lshlrev_b32_sdwa v16, v59, v16 dst_sel:DWORD dst_unused:UNUSED_PAD src0_sel:DWORD src1_sel:WORD_0
	v_mul_u32_u24_e32 v13, 0xe10, v13
	v_and_b32_e32 v15, 0xffff, v0
	v_mul_lo_u16 v0, 0x12c, v14
	v_mul_u32_u24_sdwa v14, v64, v23 dst_sel:DWORD dst_unused:UNUSED_PAD src0_sel:WORD_0 src1_sel:DWORD
	v_add3_u32 v13, 0, v13, v16
	v_lshlrev_b32_e32 v23, 3, v15
	v_sub_nc_u16 v0, v33, v0
	v_lshrrev_b32_e32 v66, 21, v14
	v_lshl_add_u32 v15, v15, 2, 0
	global_load_dwordx2 v[64:65], v23, s[8:9] offset:1188
	v_and_b32_e32 v14, 0xffff, v0
	v_mul_lo_u16 v0, 0x12c, v66
	v_lshlrev_b32_e32 v23, 3, v14
	v_sub_nc_u16 v0, v30, v0
	v_lshl_add_u32 v14, v14, 2, 0
	global_load_dwordx2 v[66:67], v23, s[8:9] offset:1188
	v_and_b32_e32 v0, 0xffff, v0
	v_lshlrev_b32_e32 v23, 3, v0
	v_lshl_add_u32 v0, v0, 2, 0
	global_load_dwordx2 v[68:69], v23, s[8:9] offset:1188
	ds_read2_b32 v[70:71], v52 offset0:132 offset1:222
	ds_read2_b32 v[72:73], v53 offset0:8 offset1:98
	;; [unrolled: 1-line block ×4, first 2 shown]
	s_waitcnt lgkmcnt(3)
	v_lshrrev_b32_e32 v23, 16, v70
	s_waitcnt lgkmcnt(2)
	v_lshrrev_b32_e32 v79, 16, v72
	v_lshrrev_b32_e32 v81, 16, v71
	s_waitcnt lgkmcnt(0)
	v_lshrrev_b32_e32 v88, 16, v77
	s_waitcnt vmcnt(9)
	v_mul_f16_sdwa v78, v8, v70 dst_sel:DWORD dst_unused:UNUSED_PAD src0_sel:WORD_1 src1_sel:DWORD
	v_mul_f16_sdwa v82, v8, v23 dst_sel:DWORD dst_unused:UNUSED_PAD src0_sel:WORD_1 src1_sel:DWORD
	;; [unrolled: 1-line block ×4, first 2 shown]
	v_fma_f16 v78, v8, v23, -v78
	v_lshrrev_b32_e32 v23, 16, v73
	v_fmac_f16_e32 v82, v8, v70
	v_fmac_f16_e32 v83, v9, v72
	s_waitcnt vmcnt(8)
	v_mul_f16_sdwa v84, v81, v17 dst_sel:DWORD dst_unused:UNUSED_PAD src0_sel:DWORD src1_sel:WORD_1
	v_mul_f16_sdwa v70, v71, v17 dst_sel:DWORD dst_unused:UNUSED_PAD src0_sel:DWORD src1_sel:WORD_1
	;; [unrolled: 1-line block ×3, first 2 shown]
	v_fma_f16 v79, v9, v79, -v80
	ds_read2_b32 v[8:9], v39 offset0:108 offset1:198
	v_fmac_f16_e32 v84, v71, v17
	v_mul_f16_sdwa v71, v73, v18 dst_sel:DWORD dst_unused:UNUSED_PAD src0_sel:DWORD src1_sel:WORD_1
	v_fmac_f16_e32 v72, v73, v18
	v_fma_f16 v73, v81, v17, -v70
	v_lshrrev_b32_e32 v80, 16, v74
	s_waitcnt vmcnt(7)
	v_mul_f16_sdwa v85, v74, v19 dst_sel:DWORD dst_unused:UNUSED_PAD src0_sel:DWORD src1_sel:WORD_1
	v_fma_f16 v81, v23, v18, -v71
	ds_read2_b32 v[17:18], v44 offset0:112 offset1:202
	v_lshrrev_b32_e32 v23, 16, v76
	v_lshrrev_b32_e32 v70, 16, v75
	v_fma_f16 v85, v80, v19, -v85
	v_mul_f16_sdwa v71, v76, v20 dst_sel:DWORD dst_unused:UNUSED_PAD src0_sel:DWORD src1_sel:WORD_1
	v_mul_f16_sdwa v80, v80, v19 dst_sel:DWORD dst_unused:UNUSED_PAD src0_sel:DWORD src1_sel:WORD_1
	v_mul_f16_sdwa v86, v23, v20 dst_sel:DWORD dst_unused:UNUSED_PAD src0_sel:DWORD src1_sel:WORD_1
	v_add_f16_e32 v103, v78, v79
	v_fma_f16 v89, v23, v20, -v71
	v_fmac_f16_e32 v80, v74, v19
	v_fmac_f16_e32 v86, v76, v20
	ds_read2_b32 v[19:20], v27 offset0:160 offset1:250
	s_waitcnt vmcnt(6)
	v_mul_f16_sdwa v87, v70, v10 dst_sel:DWORD dst_unused:UNUSED_PAD src0_sel:DWORD src1_sel:WORD_1
	v_mul_f16_sdwa v74, v88, v11 dst_sel:DWORD dst_unused:UNUSED_PAD src0_sel:DWORD src1_sel:WORD_1
	;; [unrolled: 1-line block ×4, first 2 shown]
	s_waitcnt vmcnt(5) lgkmcnt(2)
	v_mul_f16_sdwa v76, v8, v60 dst_sel:DWORD dst_unused:UNUSED_PAD src0_sel:DWORD src1_sel:WORD_1
	v_fmac_f16_e32 v87, v75, v10
	v_fmac_f16_e32 v74, v77, v11
	v_fma_f16 v77, v70, v10, -v23
	v_fma_f16 v88, v88, v11, -v71
	ds_read2_b32 v[10:11], v32 offset0:36 offset1:126
	v_lshrrev_b32_e32 v75, 16, v8
	s_waitcnt lgkmcnt(2)
	v_lshrrev_b32_e32 v23, 16, v17
	v_lshrrev_b32_e32 v71, 16, v9
	;; [unrolled: 1-line block ×3, first 2 shown]
	v_mul_f16_sdwa v70, v17, v61 dst_sel:DWORD dst_unused:UNUSED_PAD src0_sel:DWORD src1_sel:WORD_1
	v_fma_f16 v76, v75, v60, -v76
	v_mul_f16_sdwa v75, v75, v60 dst_sel:DWORD dst_unused:UNUSED_PAD src0_sel:DWORD src1_sel:WORD_1
	v_mul_f16_sdwa v91, v23, v61 dst_sel:DWORD dst_unused:UNUSED_PAD src0_sel:DWORD src1_sel:WORD_1
	s_waitcnt vmcnt(4)
	v_mul_f16_sdwa v92, v71, v21 dst_sel:DWORD dst_unused:UNUSED_PAD src0_sel:DWORD src1_sel:WORD_1
	v_mul_f16_sdwa v94, v90, v22 dst_sel:DWORD dst_unused:UNUSED_PAD src0_sel:DWORD src1_sel:WORD_1
	v_fma_f16 v93, v23, v61, -v70
	v_fmac_f16_e32 v75, v8, v60
	v_fmac_f16_e32 v91, v17, v61
	;; [unrolled: 1-line block ×3, first 2 shown]
	v_mul_f16_sdwa v17, v9, v21 dst_sel:DWORD dst_unused:UNUSED_PAD src0_sel:DWORD src1_sel:WORD_1
	ds_read2_b32 v[8:9], v49 offset0:84 offset1:174
	v_fmac_f16_e32 v94, v18, v22
	v_mul_f16_sdwa v18, v18, v22 dst_sel:DWORD dst_unused:UNUSED_PAD src0_sel:DWORD src1_sel:WORD_1
	s_waitcnt lgkmcnt(2)
	v_lshrrev_b32_e32 v23, 16, v19
	v_fma_f16 v61, v71, v21, -v17
	ds_read2_b32 v[70:71], v48 offset0:88 offset1:178
	s_waitcnt lgkmcnt(2)
	v_lshrrev_b32_e32 v17, 16, v10
	v_fma_f16 v90, v90, v22, -v18
	v_lshrrev_b32_e32 v18, 16, v20
	v_lshrrev_b32_e32 v22, 16, v11
	s_waitcnt vmcnt(3)
	v_mul_f16_sdwa v21, v10, v63 dst_sel:DWORD dst_unused:UNUSED_PAD src0_sel:DWORD src1_sel:WORD_1
	v_mul_f16_sdwa v97, v17, v63 dst_sel:DWORD dst_unused:UNUSED_PAD src0_sel:DWORD src1_sel:WORD_1
	v_mul_f16_sdwa v60, v19, v62 dst_sel:DWORD dst_unused:UNUSED_PAD src0_sel:DWORD src1_sel:WORD_1
	v_mul_f16_sdwa v96, v23, v62 dst_sel:DWORD dst_unused:UNUSED_PAD src0_sel:DWORD src1_sel:WORD_1
	s_waitcnt vmcnt(2)
	v_mul_f16_sdwa v98, v18, v64 dst_sel:DWORD dst_unused:UNUSED_PAD src0_sel:DWORD src1_sel:WORD_1
	v_mul_f16_sdwa v100, v22, v65 dst_sel:DWORD dst_unused:UNUSED_PAD src0_sel:DWORD src1_sel:WORD_1
	v_fmac_f16_e32 v97, v10, v63
	v_mul_f16_sdwa v10, v20, v64 dst_sel:DWORD dst_unused:UNUSED_PAD src0_sel:DWORD src1_sel:WORD_1
	v_fma_f16 v99, v17, v63, -v21
	v_fma_f16 v95, v23, v62, -v60
	s_waitcnt lgkmcnt(1)
	v_lshrrev_b32_e32 v17, 16, v8
	v_fmac_f16_e32 v96, v19, v62
	v_fmac_f16_e32 v98, v20, v64
	;; [unrolled: 1-line block ×3, first 2 shown]
	v_mul_f16_sdwa v11, v11, v65 dst_sel:DWORD dst_unused:UNUSED_PAD src0_sel:DWORD src1_sel:WORD_1
	v_fma_f16 v62, v18, v64, -v10
	ds_read_b32 v64, v40
	s_waitcnt vmcnt(1)
	v_mul_f16_sdwa v19, v8, v66 dst_sel:DWORD dst_unused:UNUSED_PAD src0_sel:DWORD src1_sel:WORD_1
	v_mul_f16_sdwa v21, v17, v66 dst_sel:DWORD dst_unused:UNUSED_PAD src0_sel:DWORD src1_sel:WORD_1
	s_waitcnt lgkmcnt(1)
	v_lshrrev_b32_e32 v10, 16, v70
	v_mul_f16_sdwa v18, v70, v67 dst_sel:DWORD dst_unused:UNUSED_PAD src0_sel:DWORD src1_sel:WORD_1
	v_fma_f16 v63, v22, v65, -v11
	v_lshrrev_b32_e32 v11, 16, v9
	v_fma_f16 v22, v17, v66, -v19
	v_lshrrev_b32_e32 v19, 16, v71
	v_fmac_f16_e32 v21, v8, v66
	s_waitcnt vmcnt(0)
	v_mul_f16_sdwa v8, v9, v68 dst_sel:DWORD dst_unused:UNUSED_PAD src0_sel:DWORD src1_sel:WORD_1
	v_fma_f16 v23, v10, v67, -v18
	v_mul_f16_sdwa v60, v10, v67 dst_sel:DWORD dst_unused:UNUSED_PAD src0_sel:DWORD src1_sel:WORD_1
	v_mul_f16_sdwa v10, v71, v69 dst_sel:DWORD dst_unused:UNUSED_PAD src0_sel:DWORD src1_sel:WORD_1
	;; [unrolled: 1-line block ×4, first 2 shown]
	v_fma_f16 v20, v11, v68, -v8
	v_lshl_add_u32 v11, v36, 2, 0
	v_fma_f16 v19, v19, v69, -v10
	v_lshl_add_u32 v10, v35, 2, 0
	v_fmac_f16_e32 v17, v9, v68
	v_lshl_add_u32 v9, v31, 2, 0
	v_fmac_f16_e32 v60, v70, v67
	v_fmac_f16_e32 v18, v71, v69
	v_lshl_add_u32 v8, v33, 2, 0
	ds_read_b32 v66, v55
	ds_read_b32 v67, v54
	;; [unrolled: 1-line block ×7, first 2 shown]
	v_add_f16_e32 v65, v82, v83
	s_waitcnt lgkmcnt(7)
	v_lshrrev_b32_e32 v102, 16, v64
	v_add_f16_e32 v104, v64, v82
	v_sub_f16_e32 v82, v82, v83
	v_fmac_f16_e32 v64, -0.5, v65
	v_sub_f16_e32 v65, v78, v79
	v_add_f16_e32 v78, v102, v78
	v_fmac_f16_e32 v102, -0.5, v103
	v_add_f16_e32 v83, v104, v83
	v_add_f16_e32 v104, v73, v81
	v_fmamk_f16 v103, v65, 0xbaee, v64
	v_fmac_f16_e32 v64, 0x3aee, v65
	v_add_f16_e32 v65, v78, v79
	v_fmamk_f16 v78, v82, 0x3aee, v102
	v_add_f16_e32 v79, v84, v72
	v_fmac_f16_e32 v102, 0xbaee, v82
	s_waitcnt lgkmcnt(6)
	v_lshrrev_b32_e32 v82, 16, v66
	v_add_f16_e32 v105, v66, v84
	v_sub_f16_e32 v84, v84, v72
	v_fmac_f16_e32 v66, -0.5, v79
	v_sub_f16_e32 v79, v73, v81
	v_add_f16_e32 v73, v82, v73
	v_fmac_f16_e32 v82, -0.5, v104
	v_add_f16_e32 v72, v105, v72
	v_add_f16_e32 v105, v85, v89
	v_fmamk_f16 v104, v79, 0xbaee, v66
	v_fmac_f16_e32 v66, 0x3aee, v79
	v_add_f16_e32 v73, v73, v81
	v_fmamk_f16 v79, v84, 0x3aee, v82
	v_add_f16_e32 v81, v80, v86
	v_fmac_f16_e32 v82, 0xbaee, v84
	;; [unrolled: 16-line block ×3, first 2 shown]
	s_waitcnt lgkmcnt(0)
	v_lshrrev_b32_e32 v80, 16, v101
	v_add_f16_e32 v107, v101, v87
	v_sub_f16_e32 v87, v87, v74
	v_fmac_f16_e32 v101, -0.5, v89
	v_sub_f16_e32 v89, v77, v88
	v_add_f16_e32 v77, v80, v77
	v_fmac_f16_e32 v80, -0.5, v106
	v_pack_b32_f16 v65, v83, v65
	v_pack_b32_f16 v78, v103, v78
	;; [unrolled: 1-line block ×3, first 2 shown]
	v_add_f16_e32 v77, v77, v88
	v_fmamk_f16 v88, v87, 0x3aee, v80
	v_fmac_f16_e32 v80, 0xbaee, v87
	ds_read_b32 v83, v57
	ds_read_b32 v87, v56
	s_waitcnt lgkmcnt(0)
	s_barrier
	buffer_gl0_inv
	ds_write_b32 v40, v65
	ds_write_b32 v40, v78 offset:1200
	v_pack_b32_f16 v65, v72, v73
	v_pack_b32_f16 v72, v104, v79
	;; [unrolled: 1-line block ×3, first 2 shown]
	ds_write_b32 v40, v64 offset:2400
	ds_write_b32 v55, v65
	ds_write_b32 v55, v72 offset:1200
	v_pack_b32_f16 v65, v105, v85
	v_pack_b32_f16 v73, v86, v81
	v_add_f16_e32 v74, v107, v74
	v_fmamk_f16 v106, v89, 0xbaee, v101
	v_cndmask_b32_e64 v64, 0, 0xe10, s0
	ds_write_b32 v55, v66 offset:2400
	ds_write_b32 v54, v73
	v_pack_b32_f16 v66, v67, v84
	v_lshrrev_b32_e32 v73, 16, v68
	ds_write_b32 v54, v65 offset:1200
	v_lshrrev_b32_e32 v65, 16, v69
	v_fmac_f16_e32 v101, 0x3aee, v89
	v_add3_u32 v12, 0, v64, v12
	v_pack_b32_f16 v64, v74, v77
	v_pack_b32_f16 v67, v106, v88
	ds_write_b32 v54, v66 offset:2400
	v_add_f16_e32 v66, v68, v75
	v_add_f16_e32 v74, v73, v76
	;; [unrolled: 1-line block ×4, first 2 shown]
	v_pack_b32_f16 v72, v101, v80
	ds_write_b32 v12, v64
	v_add_f16_e32 v64, v66, v91
	v_add_f16_e32 v66, v74, v93
	;; [unrolled: 1-line block ×4, first 2 shown]
	ds_write_b32 v12, v67 offset:1200
	ds_write_b32 v12, v72 offset:2400
	v_add_f16_e32 v12, v75, v91
	v_pack_b32_f16 v64, v64, v66
	v_add_f16_e32 v72, v76, v93
	v_pack_b32_f16 v66, v74, v77
	v_sub_f16_e32 v74, v76, v93
	v_fmac_f16_e32 v68, -0.5, v12
	v_add_f16_e32 v12, v92, v94
	v_add_f16_e32 v76, v61, v90
	v_add_nc_u32_e32 v67, 0xe00, v40
	v_fmac_f16_e32 v73, -0.5, v72
	v_sub_f16_e32 v72, v75, v91
	v_fmac_f16_e32 v69, -0.5, v12
	v_sub_f16_e32 v12, v61, v90
	;; [unrolled: 2-line block ×3, first 2 shown]
	ds_write2_b32 v67, v64, v66 offset0:64 offset1:154
	v_fmamk_f16 v64, v74, 0xbaee, v68
	v_fmamk_f16 v66, v72, 0x3aee, v73
	;; [unrolled: 1-line block ×4, first 2 shown]
	v_fmac_f16_e32 v68, 0x3aee, v74
	v_fmac_f16_e32 v73, 0xbaee, v72
	;; [unrolled: 1-line block ×4, first 2 shown]
	v_pack_b32_f16 v12, v64, v66
	v_pack_b32_f16 v61, v67, v75
	;; [unrolled: 1-line block ×3, first 2 shown]
	v_add_f16_e32 v66, v96, v97
	v_pack_b32_f16 v65, v69, v65
	v_lshrrev_b32_e32 v67, 16, v83
	v_add_f16_e32 v68, v95, v99
	v_add_f16_e32 v69, v83, v96
	v_fmac_f16_e32 v83, -0.5, v66
	v_sub_f16_e32 v66, v95, v99
	v_add_f16_e32 v72, v67, v95
	v_fmac_f16_e32 v67, -0.5, v68
	v_add_f16_e32 v68, v69, v97
	v_sub_f16_e32 v69, v96, v97
	v_fmamk_f16 v73, v66, 0xbaee, v83
	v_add_f16_e32 v59, v72, v99
	v_fmac_f16_e32 v83, 0x3aee, v66
	ds_write2_b32 v39, v12, v61 offset0:108 offset1:198
	v_fmamk_f16 v66, v69, 0x3aee, v67
	ds_write2_b32 v49, v64, v65 offset0:24 offset1:114
	v_pack_b32_f16 v16, v68, v59
	v_fmac_f16_e32 v67, 0xbaee, v69
	v_add_f16_e32 v61, v62, v63
	v_pack_b32_f16 v12, v73, v66
	v_add_f16_e32 v64, v70, v98
	ds_write_b32 v13, v16
	v_add_f16_e32 v16, v98, v100
	v_pack_b32_f16 v59, v83, v67
	ds_write_b32 v13, v12 offset:1200
	v_lshrrev_b32_e32 v12, 16, v70
	v_add_f16_e32 v64, v64, v100
	v_fmac_f16_e32 v70, -0.5, v16
	v_sub_f16_e32 v16, v62, v63
	ds_write_b32 v13, v59 offset:2400
	v_add_f16_e32 v62, v12, v62
	v_fmac_f16_e32 v12, -0.5, v61
	v_sub_f16_e32 v61, v98, v100
	v_fmamk_f16 v65, v16, 0xbaee, v70
	v_fmac_f16_e32 v70, 0x3aee, v16
	v_add_f16_e32 v62, v62, v63
	v_add_f16_e32 v59, v21, v60
	v_fmamk_f16 v16, v61, 0x3aee, v12
	v_fmac_f16_e32 v12, 0xbaee, v61
	v_lshrrev_b32_e32 v61, 16, v71
	v_pack_b32_f16 v13, v64, v62
	v_add_f16_e32 v62, v71, v21
	v_pack_b32_f16 v16, v65, v16
	v_fmac_f16_e32 v71, -0.5, v59
	v_add_f16_e32 v59, v61, v22
	ds_write_b32 v15, v13 offset:7200
	v_add_f16_e32 v13, v22, v23
	v_sub_f16_e32 v22, v22, v23
	v_pack_b32_f16 v12, v70, v12
	ds_write_b32 v15, v16 offset:8400
	v_add_f16_e32 v16, v62, v60
	v_fmac_f16_e32 v61, -0.5, v13
	v_sub_f16_e32 v13, v21, v60
	v_add_f16_e32 v23, v59, v23
	v_fmamk_f16 v21, v22, 0xbaee, v71
	ds_write_b32 v15, v12 offset:9600
	v_add_f16_e32 v15, v17, v18
	v_fmamk_f16 v59, v13, 0x3aee, v61
	v_pack_b32_f16 v12, v16, v23
	v_lshrrev_b32_e32 v16, 16, v87
	v_fmac_f16_e32 v61, 0xbaee, v13
	v_add_f16_e32 v23, v87, v17
	v_pack_b32_f16 v13, v21, v59
	v_add_f16_e32 v21, v20, v19
	v_fmac_f16_e32 v87, -0.5, v15
	v_add_f16_e32 v15, v16, v20
	v_sub_f16_e32 v20, v20, v19
	v_sub_f16_e32 v17, v17, v18
	v_fmac_f16_e32 v16, -0.5, v21
	v_fmac_f16_e32 v71, 0x3aee, v22
	v_add_f16_e32 v18, v23, v18
	v_add_f16_e32 v15, v15, v19
	v_fmamk_f16 v19, v20, 0xbaee, v87
	v_fmamk_f16 v21, v17, 0x3aee, v16
	v_fmac_f16_e32 v87, 0x3aee, v20
	v_fmac_f16_e32 v16, 0xbaee, v17
	v_pack_b32_f16 v22, v71, v61
	ds_write_b32 v14, v12 offset:7200
	v_pack_b32_f16 v12, v18, v15
	v_pack_b32_f16 v15, v19, v21
	v_add_co_u32 v2, s0, 0x800, v2
	ds_write_b32 v14, v13 offset:8400
	ds_write_b32 v14, v22 offset:9600
	;; [unrolled: 1-line block ×4, first 2 shown]
	v_pack_b32_f16 v12, v87, v16
	v_add_co_ci_u32_e64 v3, s0, 0, v3, s0
	ds_write_b32 v0, v12 offset:9600
	s_waitcnt lgkmcnt(0)
	s_barrier
	buffer_gl0_inv
	global_load_dwordx2 v[12:13], v[2:3], off offset:1540
	v_add_co_u32 v2, s0, 0x800, v6
	v_add_co_ci_u32_e64 v3, s0, 0, v7, s0
	v_lshlrev_b32_e32 v0, 1, v37
	v_add_co_u32 v4, s0, 0x800, v4
	global_load_dwordx2 v[6:7], v[2:3], off offset:1540
	v_add_co_ci_u32_e64 v5, s0, 0, v5, s0
	v_lshlrev_b64 v[2:3], 2, v[0:1]
	v_lshlrev_b32_e32 v0, 1, v36
	v_add_co_u32 v2, s0, s8, v2
	v_add_co_ci_u32_e64 v3, s0, s9, v3, s0
	v_lshlrev_b64 v[14:15], 2, v[0:1]
	v_add_co_u32 v2, s0, 0x800, v2
	v_add_co_ci_u32_e64 v3, s0, 0, v3, s0
	v_lshlrev_b32_e32 v0, 1, v35
	s_clause 0x1
	global_load_dwordx2 v[16:17], v[4:5], off offset:1540
	global_load_dwordx2 v[18:19], v[2:3], off offset:1540
	v_add_co_u32 v4, s0, s8, v14
	v_add_co_ci_u32_e64 v5, s0, s9, v15, s0
	v_lshlrev_b64 v[2:3], 2, v[0:1]
	v_add_co_u32 v4, s0, 0x800, v4
	v_lshlrev_b32_e32 v0, 1, v34
	v_add_co_ci_u32_e64 v5, s0, 0, v5, s0
	v_add_co_u32 v20, s0, s8, v2
	v_add_co_ci_u32_e64 v21, s0, s9, v3, s0
	v_lshlrev_b64 v[2:3], 2, v[0:1]
	global_load_dwordx2 v[14:15], v[4:5], off offset:1540
	v_add_co_u32 v4, s0, 0x800, v20
	v_lshlrev_b32_e32 v0, 1, v31
	v_add_co_ci_u32_e64 v5, s0, 0, v21, s0
	v_add_co_u32 v22, s0, s8, v2
	v_add_co_ci_u32_e64 v23, s0, s9, v3, s0
	v_lshlrev_b64 v[2:3], 2, v[0:1]
	global_load_dwordx2 v[20:21], v[4:5], off offset:1540
	v_add_co_u32 v4, s0, 0x800, v22
	v_add_co_ci_u32_e64 v5, s0, 0, v23, s0
	v_add_co_u32 v2, s0, s8, v2
	v_add_co_ci_u32_e64 v3, s0, s9, v3, s0
	v_lshlrev_b32_e32 v0, 1, v33
	v_add_co_u32 v2, s0, 0x800, v2
	v_add_co_ci_u32_e64 v3, s0, 0, v3, s0
	s_clause 0x1
	global_load_dwordx2 v[22:23], v[4:5], off offset:1540
	global_load_dwordx2 v[59:60], v[2:3], off offset:1540
	v_lshlrev_b64 v[4:5], 2, v[0:1]
	v_lshlrev_b32_e32 v0, 1, v30
	v_add_co_u32 v2, s0, s8, v4
	v_add_co_ci_u32_e64 v3, s0, s9, v5, s0
	v_lshlrev_b64 v[4:5], 2, v[0:1]
	v_add_co_u32 v2, s0, 0x800, v2
	v_add_co_ci_u32_e64 v3, s0, 0, v3, s0
	v_add_co_u32 v0, s0, s8, v4
	global_load_dwordx2 v[61:62], v[2:3], off offset:1540
	v_add_co_ci_u32_e64 v3, s0, s9, v5, s0
	v_add_co_u32 v2, s0, 0x800, v0
	v_add_co_ci_u32_e64 v3, s0, 0, v3, s0
	global_load_dwordx2 v[63:64], v[2:3], off offset:1540
	ds_read2_b32 v[4:5], v52 offset0:132 offset1:222
	ds_read2_b32 v[52:53], v53 offset0:8 offset1:98
	ds_read_u16 v67, v40 offset:3962
	ds_read2_b32 v[65:66], v50 offset0:56 offset1:146
	ds_read2_b32 v[50:51], v51 offset0:60 offset1:150
	s_waitcnt lgkmcnt(4)
	v_lshrrev_b32_e32 v0, 16, v4
	s_waitcnt lgkmcnt(3)
	v_lshrrev_b32_e32 v3, 16, v52
	;; [unrolled: 2-line block ×3, first 2 shown]
	s_waitcnt vmcnt(9)
	v_mul_f16_sdwa v2, v12, v4 dst_sel:DWORD dst_unused:UNUSED_PAD src0_sel:WORD_1 src1_sel:DWORD
	v_mul_f16_sdwa v70, v12, v0 dst_sel:DWORD dst_unused:UNUSED_PAD src0_sel:WORD_1 src1_sel:DWORD
	;; [unrolled: 1-line block ×4, first 2 shown]
	v_fma_f16 v69, v12, v0, -v2
	v_fmac_f16_e32 v70, v12, v4
	v_lshrrev_b32_e32 v12, 16, v53
	v_fma_f16 v68, v13, v3, -v68
	s_waitcnt vmcnt(8)
	v_mul_f16_sdwa v75, v67, v6 dst_sel:DWORD dst_unused:UNUSED_PAD src0_sel:DWORD src1_sel:WORD_1
	v_mul_f16_sdwa v77, v6, v5 dst_sel:DWORD dst_unused:UNUSED_PAD src0_sel:WORD_1 src1_sel:DWORD
	v_fmac_f16_e32 v71, v13, v52
	v_mul_f16_sdwa v76, v12, v7 dst_sel:DWORD dst_unused:UNUSED_PAD src0_sel:DWORD src1_sel:WORD_1
	v_mul_f16_sdwa v13, v53, v7 dst_sel:DWORD dst_unused:UNUSED_PAD src0_sel:DWORD src1_sel:WORD_1
	ds_read_b32 v4, v11
	ds_read_b32 v3, v10
	;; [unrolled: 1-line block ×7, first 2 shown]
	v_fmac_f16_e32 v75, v6, v5
	v_fma_f16 v52, v67, v6, -v77
	v_fmac_f16_e32 v76, v53, v7
	ds_read2_b32 v[5:6], v39 offset0:108 offset1:198
	v_fma_f16 v7, v12, v7, -v13
	ds_read2_b32 v[12:13], v44 offset0:112 offset1:202
	v_lshrrev_b32_e32 v39, 16, v65
	s_waitcnt lgkmcnt(9)
	v_lshrrev_b32_e32 v67, 16, v50
	s_waitcnt vmcnt(7)
	v_mul_f16_sdwa v53, v65, v16 dst_sel:DWORD dst_unused:UNUSED_PAD src0_sel:DWORD src1_sel:WORD_1
	v_mul_f16_sdwa v77, v50, v17 dst_sel:DWORD dst_unused:UNUSED_PAD src0_sel:DWORD src1_sel:WORD_1
	s_waitcnt vmcnt(6)
	v_mul_f16_sdwa v79, v78, v18 dst_sel:DWORD dst_unused:UNUSED_PAD src0_sel:DWORD src1_sel:WORD_1
	v_fma_f16 v44, v39, v16, -v53
	v_mul_f16_sdwa v53, v67, v17 dst_sel:DWORD dst_unused:UNUSED_PAD src0_sel:DWORD src1_sel:WORD_1
	v_mul_f16_sdwa v39, v39, v16 dst_sel:DWORD dst_unused:UNUSED_PAD src0_sel:DWORD src1_sel:WORD_1
	v_fma_f16 v67, v67, v17, -v77
	v_lshrrev_b32_e32 v77, 16, v51
	v_fmac_f16_e32 v79, v66, v18
	v_fmac_f16_e32 v53, v50, v17
	v_mul_f16_sdwa v50, v66, v18 dst_sel:DWORD dst_unused:UNUSED_PAD src0_sel:DWORD src1_sel:WORD_1
	v_mul_f16_sdwa v66, v51, v19 dst_sel:DWORD dst_unused:UNUSED_PAD src0_sel:DWORD src1_sel:WORD_1
	v_fmac_f16_e32 v39, v65, v16
	v_mul_f16_sdwa v65, v77, v19 dst_sel:DWORD dst_unused:UNUSED_PAD src0_sel:DWORD src1_sel:WORD_1
	s_waitcnt lgkmcnt(1)
	v_lshrrev_b32_e32 v80, 16, v5
	s_waitcnt vmcnt(5)
	v_mul_f16_sdwa v81, v5, v14 dst_sel:DWORD dst_unused:UNUSED_PAD src0_sel:DWORD src1_sel:WORD_1
	ds_read2_b32 v[16:17], v27 offset0:160 offset1:250
	v_fma_f16 v27, v78, v18, -v50
	v_fma_f16 v50, v77, v19, -v66
	s_waitcnt lgkmcnt(1)
	v_lshrrev_b32_e32 v66, 16, v12
	v_fmac_f16_e32 v65, v51, v19
	v_fma_f16 v51, v80, v14, -v81
	v_lshrrev_b32_e32 v77, 16, v6
	ds_read2_b32 v[18:19], v32 offset0:36 offset1:126
	v_mul_f16_sdwa v32, v80, v14 dst_sel:DWORD dst_unused:UNUSED_PAD src0_sel:DWORD src1_sel:WORD_1
	v_mul_f16_sdwa v80, v66, v15 dst_sel:DWORD dst_unused:UNUSED_PAD src0_sel:DWORD src1_sel:WORD_1
	v_lshrrev_b32_e32 v82, 16, v13
	v_mul_f16_sdwa v78, v12, v15 dst_sel:DWORD dst_unused:UNUSED_PAD src0_sel:DWORD src1_sel:WORD_1
	s_waitcnt vmcnt(4)
	v_mul_f16_sdwa v81, v77, v20 dst_sel:DWORD dst_unused:UNUSED_PAD src0_sel:DWORD src1_sel:WORD_1
	v_fmac_f16_e32 v32, v5, v14
	v_fmac_f16_e32 v80, v12, v15
	v_mul_f16_sdwa v14, v82, v21 dst_sel:DWORD dst_unused:UNUSED_PAD src0_sel:DWORD src1_sel:WORD_1
	v_mul_f16_sdwa v12, v6, v20 dst_sel:DWORD dst_unused:UNUSED_PAD src0_sel:DWORD src1_sel:WORD_1
	v_fma_f16 v66, v66, v15, -v78
	v_fmac_f16_e32 v81, v6, v20
	v_mul_f16_sdwa v15, v13, v21 dst_sel:DWORD dst_unused:UNUSED_PAD src0_sel:DWORD src1_sel:WORD_1
	ds_read2_b32 v[5:6], v49 offset0:84 offset1:174
	v_fmac_f16_e32 v14, v13, v21
	v_fma_f16 v20, v77, v20, -v12
	ds_read2_b32 v[12:13], v48 offset0:88 offset1:178
	s_waitcnt lgkmcnt(3)
	v_lshrrev_b32_e32 v78, 16, v16
	s_waitcnt vmcnt(3)
	v_mul_f16_sdwa v83, v16, v22 dst_sel:DWORD dst_unused:UNUSED_PAD src0_sel:DWORD src1_sel:WORD_1
	v_fma_f16 v15, v82, v21, -v15
	s_waitcnt lgkmcnt(2)
	v_lshrrev_b32_e32 v48, 16, v18
	v_lshrrev_b32_e32 v49, 16, v17
	;; [unrolled: 1-line block ×3, first 2 shown]
	v_fma_f16 v21, v78, v22, -v83
	v_mul_f16_sdwa v78, v78, v22 dst_sel:DWORD dst_unused:UNUSED_PAD src0_sel:DWORD src1_sel:WORD_1
	v_mul_f16_sdwa v77, v18, v23 dst_sel:DWORD dst_unused:UNUSED_PAD src0_sel:DWORD src1_sel:WORD_1
	;; [unrolled: 1-line block ×3, first 2 shown]
	s_waitcnt vmcnt(2)
	v_mul_f16_sdwa v84, v49, v59 dst_sel:DWORD dst_unused:UNUSED_PAD src0_sel:DWORD src1_sel:WORD_1
	v_add_f16_e32 v85, v27, v50
	v_fmac_f16_e32 v78, v16, v22
	v_mul_f16_sdwa v16, v82, v60 dst_sel:DWORD dst_unused:UNUSED_PAD src0_sel:DWORD src1_sel:WORD_1
	v_fma_f16 v48, v48, v23, -v77
	v_fmac_f16_e32 v83, v18, v23
	v_fmac_f16_e32 v84, v17, v59
	v_mul_f16_sdwa v17, v17, v59 dst_sel:DWORD dst_unused:UNUSED_PAD src0_sel:DWORD src1_sel:WORD_1
	v_mul_f16_sdwa v18, v19, v60 dst_sel:DWORD dst_unused:UNUSED_PAD src0_sel:DWORD src1_sel:WORD_1
	s_waitcnt lgkmcnt(1)
	v_lshrrev_b32_e32 v22, 16, v5
	v_fmac_f16_e32 v16, v19, v60
	s_waitcnt lgkmcnt(0)
	v_lshrrev_b32_e32 v19, 16, v12
	s_waitcnt vmcnt(1)
	v_mul_f16_sdwa v23, v5, v61 dst_sel:DWORD dst_unused:UNUSED_PAD src0_sel:DWORD src1_sel:WORD_1
	v_fma_f16 v17, v49, v59, -v17
	v_fma_f16 v18, v82, v60, -v18
	v_mul_f16_sdwa v49, v12, v62 dst_sel:DWORD dst_unused:UNUSED_PAD src0_sel:DWORD src1_sel:WORD_1
	v_lshrrev_b32_e32 v59, 16, v6
	v_fma_f16 v23, v22, v61, -v23
	v_mul_f16_sdwa v22, v22, v61 dst_sel:DWORD dst_unused:UNUSED_PAD src0_sel:DWORD src1_sel:WORD_1
	v_lshrrev_b32_e32 v60, 16, v13
	v_mul_f16_sdwa v77, v19, v62 dst_sel:DWORD dst_unused:UNUSED_PAD src0_sel:DWORD src1_sel:WORD_1
	v_fma_f16 v19, v19, v62, -v49
	s_waitcnt vmcnt(0)
	v_mul_f16_sdwa v49, v59, v63 dst_sel:DWORD dst_unused:UNUSED_PAD src0_sel:DWORD src1_sel:WORD_1
	v_fmac_f16_e32 v22, v5, v61
	v_mul_f16_sdwa v5, v60, v64 dst_sel:DWORD dst_unused:UNUSED_PAD src0_sel:DWORD src1_sel:WORD_1
	v_mul_f16_sdwa v61, v6, v63 dst_sel:DWORD dst_unused:UNUSED_PAD src0_sel:DWORD src1_sel:WORD_1
	v_fmac_f16_e32 v77, v12, v62
	v_mul_f16_sdwa v12, v13, v64 dst_sel:DWORD dst_unused:UNUSED_PAD src0_sel:DWORD src1_sel:WORD_1
	v_fmac_f16_e32 v49, v6, v63
	v_fmac_f16_e32 v5, v13, v64
	v_fma_f16 v6, v59, v63, -v61
	v_add_f16_e32 v13, v70, v71
	v_fma_f16 v12, v60, v64, -v12
	v_lshrrev_b32_e32 v59, 16, v74
	v_add_f16_e32 v60, v69, v68
	v_add_f16_e32 v61, v74, v70
	v_fmac_f16_e32 v74, -0.5, v13
	v_sub_f16_e32 v13, v69, v68
	v_add_f16_e32 v62, v59, v69
	v_fmac_f16_e32 v59, -0.5, v60
	v_sub_f16_e32 v60, v70, v71
	v_add_f16_e32 v64, v75, v76
	v_fmamk_f16 v63, v13, 0xbaee, v74
	v_fmac_f16_e32 v74, 0x3aee, v13
	v_add_f16_e32 v13, v62, v68
	v_fmamk_f16 v62, v60, 0x3aee, v59
	v_fmac_f16_e32 v59, 0xbaee, v60
	v_lshrrev_b32_e32 v60, 16, v73
	v_add_f16_e32 v69, v73, v75
	v_fmac_f16_e32 v73, -0.5, v64
	v_sub_f16_e32 v64, v52, v7
	v_add_f16_e32 v68, v52, v7
	v_add_f16_e32 v52, v60, v52
	;; [unrolled: 1-line block ×4, first 2 shown]
	v_fmamk_f16 v70, v64, 0xbaee, v73
	v_fmac_f16_e32 v73, 0x3aee, v64
	ds_read_b32 v64, v58
	v_fmac_f16_e32 v60, -0.5, v68
	v_sub_f16_e32 v68, v75, v76
	v_add_f16_e32 v7, v52, v7
	v_add_f16_e32 v75, v44, v67
	;; [unrolled: 1-line block ×4, first 2 shown]
	v_fmamk_f16 v52, v68, 0x3aee, v60
	v_fmac_f16_e32 v60, 0xbaee, v68
	v_lshrrev_b32_e32 v68, 16, v72
	v_fmac_f16_e32 v72, -0.5, v71
	v_sub_f16_e32 v71, v44, v67
	v_sub_f16_e32 v39, v39, v53
	v_pack_b32_f16 v13, v61, v13
	v_add_f16_e32 v44, v68, v44
	v_fmac_f16_e32 v68, -0.5, v75
	v_add_f16_e32 v53, v76, v53
	v_fmamk_f16 v75, v71, 0xbaee, v72
	v_fmac_f16_e32 v72, 0x3aee, v71
	v_add_f16_e32 v44, v44, v67
	v_fmamk_f16 v67, v39, 0x3aee, v68
	v_fmac_f16_e32 v68, 0xbaee, v39
	v_add_f16_e32 v39, v79, v65
	s_waitcnt lgkmcnt(0)
	v_lshrrev_b32_e32 v82, 16, v64
	v_add_f16_e32 v86, v64, v79
	v_sub_f16_e32 v79, v79, v65
	ds_read_b32 v71, v57
	ds_read_b32 v76, v56
	v_fmac_f16_e32 v64, -0.5, v39
	v_sub_f16_e32 v39, v27, v50
	v_add_f16_e32 v27, v82, v27
	v_fmac_f16_e32 v82, -0.5, v85
	s_waitcnt lgkmcnt(0)
	s_barrier
	buffer_gl0_inv
	v_add_f16_e32 v27, v27, v50
	v_pack_b32_f16 v50, v63, v62
	ds_write_b32 v40, v13
	ds_write_b32 v40, v50 offset:3600
	v_pack_b32_f16 v13, v74, v59
	v_pack_b32_f16 v7, v69, v7
	v_add_f16_e32 v65, v86, v65
	v_pack_b32_f16 v50, v70, v52
	v_fmamk_f16 v85, v39, 0xbaee, v64
	v_fmac_f16_e32 v64, 0x3aee, v39
	v_fmamk_f16 v39, v79, 0x3aee, v82
	v_pack_b32_f16 v52, v73, v60
	v_pack_b32_f16 v44, v53, v44
	v_fmac_f16_e32 v82, 0xbaee, v79
	ds_write_b32 v40, v13 offset:7200
	ds_write_b32 v55, v7
	ds_write_b32 v55, v50 offset:3600
	ds_write_b32 v55, v52 offset:7200
	ds_write_b32 v54, v44
	v_pack_b32_f16 v7, v75, v67
	v_pack_b32_f16 v13, v72, v68
	;; [unrolled: 1-line block ×5, first 2 shown]
	ds_write_b32 v54, v7 offset:3600
	ds_write_b32 v54, v13 offset:7200
	ds_write_b32 v58, v27
	ds_write_b32 v58, v39 offset:3600
	v_add_f16_e32 v7, v32, v80
	v_lshrrev_b32_e32 v13, 16, v4
	v_add_f16_e32 v27, v51, v66
	ds_write_b32 v58, v44 offset:7200
	v_add_f16_e32 v39, v4, v32
	v_fmac_f16_e32 v4, -0.5, v7
	v_sub_f16_e32 v7, v51, v66
	v_add_f16_e32 v44, v13, v51
	v_fmac_f16_e32 v13, -0.5, v27
	v_sub_f16_e32 v27, v32, v80
	v_add_f16_e32 v50, v81, v14
	v_add_f16_e32 v32, v39, v80
	v_fmamk_f16 v39, v7, 0xbaee, v4
	v_fmac_f16_e32 v4, 0x3aee, v7
	v_add_f16_e32 v7, v44, v66
	v_fmamk_f16 v44, v27, 0x3aee, v13
	v_fmac_f16_e32 v13, 0xbaee, v27
	v_lshrrev_b32_e32 v27, 16, v3
	v_add_f16_e32 v51, v20, v15
	v_add_f16_e32 v52, v3, v81
	v_fmac_f16_e32 v3, -0.5, v50
	v_sub_f16_e32 v50, v20, v15
	v_add_f16_e32 v20, v27, v20
	v_fmac_f16_e32 v27, -0.5, v51
	v_sub_f16_e32 v51, v81, v14
	v_add_f16_e32 v14, v52, v14
	v_fmamk_f16 v52, v50, 0xbaee, v3
	v_fmac_f16_e32 v3, 0x3aee, v50
	v_add_f16_e32 v50, v78, v83
	v_add_f16_e32 v15, v20, v15
	v_fmamk_f16 v20, v51, 0x3aee, v27
	v_fmac_f16_e32 v27, 0xbaee, v51
	v_lshrrev_b32_e32 v51, 16, v71
	v_add_f16_e32 v53, v21, v48
	v_add_f16_e32 v58, v71, v78
	v_fmac_f16_e32 v71, -0.5, v50
	v_sub_f16_e32 v50, v21, v48
	v_add_f16_e32 v21, v51, v21
	v_fmac_f16_e32 v51, -0.5, v53
	v_sub_f16_e32 v53, v78, v83
	v_add_f16_e32 v60, v17, v18
	v_fmamk_f16 v59, v50, 0xbaee, v71
	v_fmac_f16_e32 v71, 0x3aee, v50
	v_add_f16_e32 v50, v84, v16
	v_add_f16_e32 v21, v21, v48
	v_fmamk_f16 v48, v53, 0x3aee, v51
	v_fmac_f16_e32 v51, 0xbaee, v53
	v_lshrrev_b32_e32 v53, 16, v2
	v_add_f16_e32 v61, v2, v84
	v_fmac_f16_e32 v2, -0.5, v50
	v_sub_f16_e32 v50, v17, v18
	v_lshrrev_b32_e32 v62, 16, v0
	v_add_f16_e32 v17, v53, v17
	v_fmac_f16_e32 v53, -0.5, v60
	v_sub_f16_e32 v60, v84, v16
	v_add_f16_e32 v16, v61, v16
	v_fmamk_f16 v61, v50, 0xbaee, v2
	v_fmac_f16_e32 v2, 0x3aee, v50
	v_add_f16_e32 v50, v22, v77
	v_add_f16_e32 v17, v17, v18
	v_fmamk_f16 v18, v60, 0x3aee, v53
	v_fmac_f16_e32 v53, 0xbaee, v60
	v_add_f16_e32 v60, v23, v19
	v_add_f16_e32 v63, v0, v22
	v_fmac_f16_e32 v0, -0.5, v50
	v_add_f16_e32 v50, v62, v23
	v_sub_f16_e32 v23, v23, v19
	v_fmac_f16_e32 v62, -0.5, v60
	v_add_f16_e32 v60, v63, v77
	v_add_f16_e32 v63, v49, v5
	v_sub_f16_e32 v22, v22, v77
	v_fmamk_f16 v64, v23, 0xbaee, v0
	v_fmac_f16_e32 v0, 0x3aee, v23
	v_lshrrev_b32_e32 v23, 16, v76
	v_add_f16_e32 v65, v76, v49
	v_fmac_f16_e32 v76, -0.5, v63
	v_sub_f16_e32 v63, v6, v12
	v_add_f16_e32 v66, v6, v12
	v_add_f16_e32 v6, v23, v6
	v_pack_b32_f16 v7, v32, v7
	v_add_f16_e32 v19, v50, v19
	v_fmamk_f16 v50, v22, 0x3aee, v62
	v_fmac_f16_e32 v62, 0xbaee, v22
	v_fmamk_f16 v22, v63, 0xbaee, v76
	v_fmac_f16_e32 v76, 0x3aee, v63
	v_fmac_f16_e32 v23, -0.5, v66
	v_add_f16_e32 v63, v65, v5
	v_sub_f16_e32 v5, v49, v5
	v_add_f16_e32 v6, v6, v12
	v_pack_b32_f16 v12, v39, v44
	v_pack_b32_f16 v4, v4, v13
	v_add_f16_e32 v58, v58, v83
	ds_write_b32 v11, v7
	ds_write_b32 v11, v12 offset:3600
	ds_write_b32 v11, v4 offset:7200
	v_pack_b32_f16 v4, v14, v15
	v_fmamk_f16 v13, v5, 0x3aee, v23
	v_fmac_f16_e32 v23, 0xbaee, v5
	v_pack_b32_f16 v5, v52, v20
	v_pack_b32_f16 v3, v3, v27
	;; [unrolled: 1-line block ×4, first 2 shown]
	ds_write_b32 v10, v4
	ds_write_b32 v10, v5 offset:3600
	ds_write_b32 v10, v3 offset:7200
	ds_write_b32 v57, v7
	ds_write_b32 v57, v12 offset:3600
	v_pack_b32_f16 v3, v71, v51
	v_pack_b32_f16 v4, v16, v17
	;; [unrolled: 1-line block ×5, first 2 shown]
	ds_write_b32 v57, v3 offset:7200
	ds_write_b32 v9, v4
	ds_write_b32 v9, v5 offset:3600
	ds_write_b32 v9, v2 offset:7200
	ds_write_b32 v8, v7
	v_pack_b32_f16 v2, v64, v50
	v_pack_b32_f16 v0, v0, v62
	;; [unrolled: 1-line block ×5, first 2 shown]
	ds_write_b32 v8, v2 offset:3600
	ds_write_b32 v8, v0 offset:7200
	ds_write_b32 v56, v3
	ds_write_b32 v56, v4 offset:3600
	ds_write_b32 v56, v5 offset:7200
	s_waitcnt lgkmcnt(0)
	s_barrier
	buffer_gl0_inv
	ds_read_b32 v7, v40
	v_sub_nc_u32_e32 v0, 0, v25
                                        ; implicit-def: $vgpr6
                                        ; implicit-def: $vgpr5
                                        ; implicit-def: $vgpr4
	v_cmpx_ne_u32_e32 0, v24
	s_xor_b32 s5, exec_lo, s5
	s_cbranch_execz .LBB0_15
; %bb.14:
	v_mov_b32_e32 v25, v1
	v_lshlrev_b64 v[1:2], 2, v[24:25]
	v_add_co_u32 v1, s0, s1, v1
	v_add_co_ci_u32_e64 v2, s0, s4, v2, s0
	global_load_dword v1, v[1:2], off
	ds_read_b32 v2, v0 offset:10800
	s_waitcnt lgkmcnt(0)
	v_sub_f16_e32 v3, v7, v2
	v_add_f16_sdwa v4, v2, v7 dst_sel:DWORD dst_unused:UNUSED_PAD src0_sel:WORD_1 src1_sel:WORD_1
	v_sub_f16_sdwa v5, v7, v2 dst_sel:DWORD dst_unused:UNUSED_PAD src0_sel:WORD_1 src1_sel:WORD_1
	v_add_f16_e32 v2, v2, v7
	v_mul_f16_e32 v3, 0.5, v3
	v_mul_f16_e32 v7, 0.5, v4
	;; [unrolled: 1-line block ×3, first 2 shown]
	s_waitcnt vmcnt(0)
	v_lshrrev_b32_e32 v6, 16, v1
	v_mul_f16_e32 v5, v6, v3
	v_fma_f16 v12, v7, v6, v4
	v_fma_f16 v6, v7, v6, -v4
	v_fma_f16 v13, 0.5, v2, v5
	v_fma_f16 v2, v2, 0.5, -v5
	v_fma_f16 v4, -v1, v3, v12
	v_fma_f16 v6, -v1, v3, v6
	v_fmac_f16_e32 v13, v1, v7
	v_fma_f16 v5, -v1, v7, v2
                                        ; implicit-def: $vgpr7
	ds_write_b16 v40, v13
.LBB0_15:
	s_or_saveexec_b32 s0, s5
	v_sub_nc_u32_e32 v3, 0, v45
	v_sub_nc_u32_e32 v2, 0, v46
	;; [unrolled: 1-line block ×3, first 2 shown]
	s_xor_b32 exec_lo, exec_lo, s0
	s_cbranch_execz .LBB0_17
; %bb.16:
	v_mov_b32_e32 v4, 0
	s_waitcnt lgkmcnt(0)
	v_add_f16_sdwa v12, v7, v7 dst_sel:DWORD dst_unused:UNUSED_PAD src0_sel:WORD_1 src1_sel:DWORD
	v_sub_f16_sdwa v5, v7, v7 dst_sel:DWORD dst_unused:UNUSED_PAD src0_sel:DWORD src1_sel:WORD_1
	ds_read_u16 v6, v4 offset:5402
	s_waitcnt lgkmcnt(0)
	v_xor_b32_e32 v7, 0x8000, v6
	v_mov_b32_e32 v6, 0
	ds_write_b16 v40, v12
	ds_write_b16 v4, v7 offset:5402
.LBB0_17:
	s_or_b32 exec_lo, exec_lo, s0
	v_mov_b32_e32 v27, 0
	s_waitcnt lgkmcnt(0)
	v_perm_b32 v7, v6, v5, 0x5040100
	v_lshlrev_b64 v[12:13], 2, v[26:27]
	v_mov_b32_e32 v39, v27
	v_mov_b32_e32 v32, v27
	v_add_nc_u32_e32 v26, 0x384, v24
	v_add_co_u32 v12, s0, s1, v12
	v_add_co_ci_u32_e64 v13, s0, s4, v13, s0
	global_load_dword v14, v[12:13], off
	v_lshlrev_b64 v[12:13], 2, v[38:39]
	v_mov_b32_e32 v38, v27
	v_add_co_u32 v12, s0, s1, v12
	v_add_co_ci_u32_e64 v13, s0, s4, v13, s0
	global_load_dword v15, v[12:13], off
	v_lshlrev_b64 v[12:13], 2, v[37:38]
	v_mov_b32_e32 v37, v27
	;; [unrolled: 5-line block ×4, first 2 shown]
	v_add_co_u32 v12, s0, s1, v12
	v_add_co_ci_u32_e64 v13, s0, s4, v13, s0
	v_lshlrev_b64 v[5:6], 2, v[34:35]
	v_mov_b32_e32 v34, v27
	global_load_dword v12, v[12:13], off
	ds_write_b16 v40, v4 offset:2
	ds_write_b32 v0, v7 offset:10800
	ds_read_b32 v13, v55
	ds_read_b32 v18, v0 offset:10440
	v_add_co_u32 v4, s0, s1, v5
	v_add_co_ci_u32_e64 v5, s0, s4, v6, s0
	v_lshlrev_b64 v[6:7], 2, v[33:34]
	global_load_dword v19, v[4:5], off
	v_lshlrev_b64 v[4:5], 2, v[31:32]
	v_mov_b32_e32 v31, v27
	v_add_co_u32 v4, s0, s1, v4
	v_add_co_ci_u32_e64 v5, s0, s4, v5, s0
	v_add_co_u32 v6, s0, s1, v6
	v_add_co_ci_u32_e64 v7, s0, s4, v7, s0
	s_waitcnt lgkmcnt(0)
	v_pk_add_f16 v20, v13, v18 neg_lo:[0,1] neg_hi:[0,1]
	v_pk_add_f16 v13, v13, v18
	s_clause 0x1
	global_load_dword v5, v[4:5], off
	global_load_dword v6, v[6:7], off
	v_bfi_b32 v18, 0xffff, v20, v13
	v_bfi_b32 v13, 0xffff, v13, v20
	v_pk_mul_f16 v18, v18, 0.5 op_sel_hi:[1,0]
	v_pk_mul_f16 v13, v13, 0.5 op_sel_hi:[1,0]
	s_waitcnt vmcnt(7)
	v_pk_fma_f16 v4, v14, v18, v13 op_sel:[1,0,0]
	v_pk_mul_f16 v7, v14, v18 op_sel_hi:[0,1]
	v_pk_fma_f16 v20, v14, v18, v13 op_sel:[1,0,0] neg_lo:[1,0,0] neg_hi:[1,0,0]
	v_pk_fma_f16 v13, v14, v18, v13 op_sel:[1,0,0] neg_lo:[0,0,1] neg_hi:[0,0,1]
	v_pk_add_f16 v14, v4, v7 op_sel:[0,1] op_sel_hi:[1,0]
	v_pk_add_f16 v4, v4, v7 op_sel:[0,1] op_sel_hi:[1,0] neg_lo:[0,1] neg_hi:[0,1]
	v_pk_add_f16 v18, v20, v7 op_sel:[0,1] op_sel_hi:[1,0] neg_lo:[0,1] neg_hi:[0,1]
	;; [unrolled: 1-line block ×3, first 2 shown]
	v_bfi_b32 v4, 0xffff, v14, v4
	v_bfi_b32 v7, 0xffff, v18, v7
	ds_write_b32 v55, v4
	ds_write_b32 v0, v7 offset:10440
	ds_read_b32 v4, v54
	ds_read_b32 v7, v0 offset:10080
	s_waitcnt lgkmcnt(0)
	v_pk_add_f16 v13, v4, v7 neg_lo:[0,1] neg_hi:[0,1]
	v_pk_add_f16 v4, v4, v7
	v_bfi_b32 v7, 0xffff, v13, v4
	v_bfi_b32 v4, 0xffff, v4, v13
	v_pk_mul_f16 v7, v7, 0.5 op_sel_hi:[1,0]
	v_pk_mul_f16 v4, v4, 0.5 op_sel_hi:[1,0]
	s_waitcnt vmcnt(6)
	v_pk_mul_f16 v14, v15, v7 op_sel_hi:[0,1]
	v_pk_fma_f16 v13, v15, v7, v4 op_sel:[1,0,0]
	v_pk_fma_f16 v18, v15, v7, v4 op_sel:[1,0,0] neg_lo:[1,0,0] neg_hi:[1,0,0]
	v_pk_fma_f16 v4, v15, v7, v4 op_sel:[1,0,0] neg_lo:[0,0,1] neg_hi:[0,0,1]
	v_pk_add_f16 v7, v13, v14 op_sel:[0,1] op_sel_hi:[1,0]
	v_pk_add_f16 v13, v13, v14 op_sel:[0,1] op_sel_hi:[1,0] neg_lo:[0,1] neg_hi:[0,1]
	v_pk_add_f16 v15, v18, v14 op_sel:[0,1] op_sel_hi:[1,0] neg_lo:[0,1] neg_hi:[0,1]
	;; [unrolled: 1-line block ×3, first 2 shown]
	v_bfi_b32 v7, 0xffff, v7, v13
	v_add_nc_u32_e32 v13, v43, v3
	v_bfi_b32 v4, 0xffff, v15, v4
	ds_write_b32 v54, v7
	ds_write_b32 v0, v4 offset:10080
	ds_read_b32 v3, v13
	ds_read_b32 v4, v0 offset:9720
	s_waitcnt lgkmcnt(0)
	v_pk_add_f16 v7, v3, v4 neg_lo:[0,1] neg_hi:[0,1]
	v_pk_add_f16 v3, v3, v4
	v_bfi_b32 v4, 0xffff, v7, v3
	v_bfi_b32 v3, 0xffff, v3, v7
	v_pk_mul_f16 v4, v4, 0.5 op_sel_hi:[1,0]
	v_pk_mul_f16 v3, v3, 0.5 op_sel_hi:[1,0]
	s_waitcnt vmcnt(5)
	v_pk_mul_f16 v14, v16, v4 op_sel_hi:[0,1]
	v_pk_fma_f16 v7, v16, v4, v3 op_sel:[1,0,0]
	v_pk_fma_f16 v15, v16, v4, v3 op_sel:[1,0,0] neg_lo:[1,0,0] neg_hi:[1,0,0]
	v_pk_fma_f16 v3, v16, v4, v3 op_sel:[1,0,0] neg_lo:[0,0,1] neg_hi:[0,0,1]
	v_pk_add_f16 v4, v7, v14 op_sel:[0,1] op_sel_hi:[1,0]
	v_pk_add_f16 v7, v7, v14 op_sel:[0,1] op_sel_hi:[1,0] neg_lo:[0,1] neg_hi:[0,1]
	v_pk_add_f16 v15, v15, v14 op_sel:[0,1] op_sel_hi:[1,0] neg_lo:[0,1] neg_hi:[0,1]
	;; [unrolled: 1-line block ×3, first 2 shown]
	v_bfi_b32 v7, 0xffff, v4, v7
	v_bfi_b32 v14, 0xffff, v15, v3
	v_lshlrev_b64 v[3:4], 2, v[30:31]
	ds_write_b32 v13, v7
	ds_write_b32 v0, v14 offset:9720
	ds_read_b32 v7, v11
	ds_read_b32 v13, v0 offset:9360
	v_add_co_u32 v3, s0, s1, v3
	v_add_co_ci_u32_e64 v4, s0, s4, v4, s0
	global_load_dword v14, v[3:4], off
	s_waitcnt lgkmcnt(0)
	v_pk_add_f16 v3, v7, v13 neg_lo:[0,1] neg_hi:[0,1]
	v_pk_add_f16 v4, v7, v13
	v_bfi_b32 v7, 0xffff, v3, v4
	v_bfi_b32 v3, 0xffff, v4, v3
	v_pk_mul_f16 v4, v7, 0.5 op_sel_hi:[1,0]
	v_pk_mul_f16 v3, v3, 0.5 op_sel_hi:[1,0]
	s_waitcnt vmcnt(5)
	v_pk_mul_f16 v13, v17, v4 op_sel_hi:[0,1]
	v_pk_fma_f16 v7, v17, v4, v3 op_sel:[1,0,0]
	v_pk_fma_f16 v15, v17, v4, v3 op_sel:[1,0,0] neg_lo:[1,0,0] neg_hi:[1,0,0]
	v_pk_fma_f16 v3, v17, v4, v3 op_sel:[1,0,0] neg_lo:[0,0,1] neg_hi:[0,0,1]
	v_pk_add_f16 v4, v7, v13 op_sel:[0,1] op_sel_hi:[1,0]
	v_pk_add_f16 v7, v7, v13 op_sel:[0,1] op_sel_hi:[1,0] neg_lo:[0,1] neg_hi:[0,1]
	v_pk_add_f16 v15, v15, v13 op_sel:[0,1] op_sel_hi:[1,0] neg_lo:[0,1] neg_hi:[0,1]
	;; [unrolled: 1-line block ×3, first 2 shown]
	v_bfi_b32 v7, 0xffff, v4, v7
	v_bfi_b32 v13, 0xffff, v15, v3
	v_lshlrev_b64 v[3:4], 2, v[26:27]
	ds_write_b32 v11, v7
	ds_write_b32 v0, v13 offset:9360
	ds_read_b32 v7, v10
	ds_read_b32 v11, v0 offset:9000
	v_add_nc_u32_e32 v26, 0x3de, v24
	v_add_co_u32 v3, s0, s1, v3
	v_add_co_ci_u32_e64 v4, s0, s4, v4, s0
	global_load_dword v4, v[3:4], off
	s_waitcnt lgkmcnt(0)
	v_pk_add_f16 v3, v7, v11 neg_lo:[0,1] neg_hi:[0,1]
	v_pk_add_f16 v7, v7, v11
	v_bfi_b32 v11, 0xffff, v3, v7
	v_bfi_b32 v3, 0xffff, v7, v3
	v_pk_mul_f16 v7, v11, 0.5 op_sel_hi:[1,0]
	v_pk_mul_f16 v3, v3, 0.5 op_sel_hi:[1,0]
	s_waitcnt vmcnt(5)
	v_pk_mul_f16 v13, v12, v7 op_sel_hi:[0,1]
	v_pk_fma_f16 v11, v12, v7, v3 op_sel:[1,0,0]
	v_pk_fma_f16 v15, v12, v7, v3 op_sel:[1,0,0] neg_lo:[1,0,0] neg_hi:[1,0,0]
	v_pk_fma_f16 v3, v12, v7, v3 op_sel:[1,0,0] neg_lo:[0,0,1] neg_hi:[0,0,1]
	v_pk_add_f16 v7, v11, v13 op_sel:[0,1] op_sel_hi:[1,0]
	v_pk_add_f16 v11, v11, v13 op_sel:[0,1] op_sel_hi:[1,0] neg_lo:[0,1] neg_hi:[0,1]
	v_pk_add_f16 v12, v15, v13 op_sel:[0,1] op_sel_hi:[1,0] neg_lo:[0,1] neg_hi:[0,1]
	;; [unrolled: 1-line block ×3, first 2 shown]
	v_bfi_b32 v7, 0xffff, v7, v11
	v_bfi_b32 v11, 0xffff, v12, v3
	v_add_nc_u32_e32 v12, v42, v2
	v_lshlrev_b64 v[2:3], 2, v[26:27]
	ds_write_b32 v10, v7
	ds_write_b32 v0, v11 offset:9000
	ds_read_b32 v7, v12
	ds_read_b32 v10, v0 offset:8640
	v_add_nc_u32_e32 v26, 0x438, v24
	v_add_co_u32 v2, s0, s1, v2
	v_add_co_ci_u32_e64 v3, s0, s4, v3, s0
	global_load_dword v11, v[2:3], off
	s_waitcnt lgkmcnt(0)
	v_pk_add_f16 v2, v7, v10 neg_lo:[0,1] neg_hi:[0,1]
	v_pk_add_f16 v3, v7, v10
	v_bfi_b32 v7, 0xffff, v2, v3
	v_bfi_b32 v2, 0xffff, v3, v2
	v_pk_mul_f16 v3, v7, 0.5 op_sel_hi:[1,0]
	v_pk_mul_f16 v2, v2, 0.5 op_sel_hi:[1,0]
	s_waitcnt vmcnt(5)
	v_pk_mul_f16 v10, v19, v3 op_sel_hi:[0,1]
	v_pk_fma_f16 v7, v19, v3, v2 op_sel:[1,0,0]
	v_pk_fma_f16 v13, v19, v3, v2 op_sel:[1,0,0] neg_lo:[1,0,0] neg_hi:[1,0,0]
	v_pk_fma_f16 v2, v19, v3, v2 op_sel:[1,0,0] neg_lo:[0,0,1] neg_hi:[0,0,1]
	v_pk_add_f16 v3, v7, v10 op_sel:[0,1] op_sel_hi:[1,0]
	v_pk_add_f16 v7, v7, v10 op_sel:[0,1] op_sel_hi:[1,0] neg_lo:[0,1] neg_hi:[0,1]
	v_pk_add_f16 v13, v13, v10 op_sel:[0,1] op_sel_hi:[1,0] neg_lo:[0,1] neg_hi:[0,1]
	v_pk_add_f16 v2, v2, v10 op_sel:[0,1] op_sel_hi:[1,0] neg_lo:[0,1] neg_hi:[0,1]
	v_bfi_b32 v7, 0xffff, v3, v7
	v_bfi_b32 v10, 0xffff, v13, v2
	v_lshlrev_b64 v[2:3], 2, v[26:27]
	ds_write_b32 v12, v7
	ds_write_b32 v0, v10 offset:8640
	ds_read_b32 v7, v9
	ds_read_b32 v10, v0 offset:8280
	v_add_nc_u32_e32 v26, 0x492, v24
	v_add_co_u32 v2, s0, s1, v2
	v_add_co_ci_u32_e64 v3, s0, s4, v3, s0
	global_load_dword v12, v[2:3], off
	s_waitcnt lgkmcnt(0)
	v_pk_add_f16 v2, v7, v10 neg_lo:[0,1] neg_hi:[0,1]
	v_pk_add_f16 v3, v7, v10
	v_bfi_b32 v7, 0xffff, v2, v3
	v_bfi_b32 v2, 0xffff, v3, v2
	v_pk_mul_f16 v3, v7, 0.5 op_sel_hi:[1,0]
	v_pk_mul_f16 v2, v2, 0.5 op_sel_hi:[1,0]
	s_waitcnt vmcnt(5)
	v_pk_mul_f16 v10, v5, v3 op_sel_hi:[0,1]
	v_pk_fma_f16 v7, v5, v3, v2 op_sel:[1,0,0]
	v_pk_fma_f16 v13, v5, v3, v2 op_sel:[1,0,0] neg_lo:[1,0,0] neg_hi:[1,0,0]
	v_pk_fma_f16 v2, v5, v3, v2 op_sel:[1,0,0] neg_lo:[0,0,1] neg_hi:[0,0,1]
	v_pk_add_f16 v3, v7, v10 op_sel:[0,1] op_sel_hi:[1,0]
	v_pk_add_f16 v5, v7, v10 op_sel:[0,1] op_sel_hi:[1,0] neg_lo:[0,1] neg_hi:[0,1]
	v_pk_add_f16 v7, v13, v10 op_sel:[0,1] op_sel_hi:[1,0] neg_lo:[0,1] neg_hi:[0,1]
	v_pk_add_f16 v2, v2, v10 op_sel:[0,1] op_sel_hi:[1,0] neg_lo:[0,1] neg_hi:[0,1]
	v_bfi_b32 v5, 0xffff, v3, v5
	v_bfi_b32 v7, 0xffff, v7, v2
	;; [unrolled: 27-line block ×3, first 2 shown]
	v_add_nc_u32_e32 v7, v41, v1
	v_lshlrev_b64 v[1:2], 2, v[26:27]
	ds_write_b32 v8, v5
	ds_write_b32 v0, v6 offset:7920
	ds_read_b32 v5, v7
	ds_read_b32 v6, v0 offset:7560
	v_add_co_u32 v1, s0, s1, v1
	v_add_co_ci_u32_e64 v2, s0, s4, v2, s0
	global_load_dword v1, v[1:2], off
	s_waitcnt lgkmcnt(0)
	v_pk_add_f16 v2, v5, v6 neg_lo:[0,1] neg_hi:[0,1]
	v_pk_add_f16 v5, v5, v6
	v_bfi_b32 v6, 0xffff, v2, v5
	v_bfi_b32 v2, 0xffff, v5, v2
	v_pk_mul_f16 v5, v6, 0.5 op_sel_hi:[1,0]
	v_pk_mul_f16 v2, v2, 0.5 op_sel_hi:[1,0]
	s_waitcnt vmcnt(5)
	v_pk_fma_f16 v6, v14, v5, v2 op_sel:[1,0,0]
	v_pk_mul_f16 v8, v14, v5 op_sel_hi:[0,1]
	v_pk_fma_f16 v9, v14, v5, v2 op_sel:[1,0,0] neg_lo:[1,0,0] neg_hi:[1,0,0]
	v_pk_fma_f16 v2, v14, v5, v2 op_sel:[1,0,0] neg_lo:[0,0,1] neg_hi:[0,0,1]
	v_pk_add_f16 v5, v6, v8 op_sel:[0,1] op_sel_hi:[1,0]
	v_pk_add_f16 v6, v6, v8 op_sel:[0,1] op_sel_hi:[1,0] neg_lo:[0,1] neg_hi:[0,1]
	v_pk_add_f16 v9, v9, v8 op_sel:[0,1] op_sel_hi:[1,0] neg_lo:[0,1] neg_hi:[0,1]
	;; [unrolled: 1-line block ×3, first 2 shown]
	v_bfi_b32 v5, 0xffff, v5, v6
	v_bfi_b32 v2, 0xffff, v9, v2
	ds_write_b32 v7, v5
	ds_write_b32 v0, v2 offset:7560
	ds_read_b32 v2, v40 offset:3600
	ds_read_b32 v5, v0 offset:7200
	s_waitcnt lgkmcnt(0)
	v_pk_add_f16 v6, v2, v5 neg_lo:[0,1] neg_hi:[0,1]
	v_pk_add_f16 v2, v2, v5
	v_bfi_b32 v5, 0xffff, v6, v2
	v_bfi_b32 v2, 0xffff, v2, v6
	v_pk_mul_f16 v5, v5, 0.5 op_sel_hi:[1,0]
	v_pk_mul_f16 v2, v2, 0.5 op_sel_hi:[1,0]
	s_waitcnt vmcnt(4)
	v_pk_mul_f16 v7, v4, v5 op_sel_hi:[0,1]
	v_pk_fma_f16 v6, v4, v5, v2 op_sel:[1,0,0]
	v_pk_fma_f16 v8, v4, v5, v2 op_sel:[1,0,0] neg_lo:[1,0,0] neg_hi:[1,0,0]
	v_pk_fma_f16 v2, v4, v5, v2 op_sel:[1,0,0] neg_lo:[0,0,1] neg_hi:[0,0,1]
	v_pk_add_f16 v4, v6, v7 op_sel:[0,1] op_sel_hi:[1,0]
	v_pk_add_f16 v5, v6, v7 op_sel:[0,1] op_sel_hi:[1,0] neg_lo:[0,1] neg_hi:[0,1]
	v_pk_add_f16 v6, v8, v7 op_sel:[0,1] op_sel_hi:[1,0] neg_lo:[0,1] neg_hi:[0,1]
	;; [unrolled: 1-line block ×3, first 2 shown]
	v_bfi_b32 v4, 0xffff, v4, v5
	v_bfi_b32 v2, 0xffff, v6, v2
	ds_write_b32 v40, v4 offset:3600
	ds_write_b32 v0, v2 offset:7200
	ds_read_b32 v2, v40 offset:3960
	ds_read_b32 v4, v0 offset:6840
	s_waitcnt lgkmcnt(0)
	v_pk_add_f16 v5, v2, v4 neg_lo:[0,1] neg_hi:[0,1]
	v_pk_add_f16 v2, v2, v4
	v_bfi_b32 v4, 0xffff, v5, v2
	v_bfi_b32 v2, 0xffff, v2, v5
	v_pk_mul_f16 v4, v4, 0.5 op_sel_hi:[1,0]
	v_pk_mul_f16 v2, v2, 0.5 op_sel_hi:[1,0]
	s_waitcnt vmcnt(3)
	v_pk_fma_f16 v5, v11, v4, v2 op_sel:[1,0,0]
	v_pk_mul_f16 v6, v11, v4 op_sel_hi:[0,1]
	v_pk_fma_f16 v7, v11, v4, v2 op_sel:[1,0,0] neg_lo:[1,0,0] neg_hi:[1,0,0]
	v_pk_fma_f16 v2, v11, v4, v2 op_sel:[1,0,0] neg_lo:[0,0,1] neg_hi:[0,0,1]
	v_pk_add_f16 v4, v5, v6 op_sel:[0,1] op_sel_hi:[1,0]
	v_pk_add_f16 v5, v5, v6 op_sel:[0,1] op_sel_hi:[1,0] neg_lo:[0,1] neg_hi:[0,1]
	v_pk_add_f16 v7, v7, v6 op_sel:[0,1] op_sel_hi:[1,0] neg_lo:[0,1] neg_hi:[0,1]
	;; [unrolled: 1-line block ×3, first 2 shown]
	v_bfi_b32 v4, 0xffff, v4, v5
	v_bfi_b32 v2, 0xffff, v7, v2
	ds_write_b32 v40, v4 offset:3960
	ds_write_b32 v0, v2 offset:6840
	ds_read_b32 v2, v40 offset:4320
	ds_read_b32 v4, v0 offset:6480
	s_waitcnt lgkmcnt(0)
	v_pk_add_f16 v5, v2, v4 neg_lo:[0,1] neg_hi:[0,1]
	v_pk_add_f16 v2, v2, v4
	v_bfi_b32 v4, 0xffff, v5, v2
	v_bfi_b32 v2, 0xffff, v2, v5
	v_pk_mul_f16 v4, v4, 0.5 op_sel_hi:[1,0]
	v_pk_mul_f16 v2, v2, 0.5 op_sel_hi:[1,0]
	s_waitcnt vmcnt(2)
	v_pk_mul_f16 v6, v12, v4 op_sel_hi:[0,1]
	v_pk_fma_f16 v5, v12, v4, v2 op_sel:[1,0,0]
	v_pk_fma_f16 v7, v12, v4, v2 op_sel:[1,0,0] neg_lo:[1,0,0] neg_hi:[1,0,0]
	v_pk_fma_f16 v2, v12, v4, v2 op_sel:[1,0,0] neg_lo:[0,0,1] neg_hi:[0,0,1]
	v_pk_add_f16 v4, v5, v6 op_sel:[0,1] op_sel_hi:[1,0]
	v_pk_add_f16 v5, v5, v6 op_sel:[0,1] op_sel_hi:[1,0] neg_lo:[0,1] neg_hi:[0,1]
	v_pk_add_f16 v7, v7, v6 op_sel:[0,1] op_sel_hi:[1,0] neg_lo:[0,1] neg_hi:[0,1]
	;; [unrolled: 1-line block ×3, first 2 shown]
	v_bfi_b32 v4, 0xffff, v4, v5
	v_bfi_b32 v2, 0xffff, v7, v2
	ds_write_b32 v40, v4 offset:4320
	ds_write_b32 v0, v2 offset:6480
	ds_read_b32 v2, v40 offset:4680
	ds_read_b32 v4, v0 offset:6120
	s_waitcnt lgkmcnt(0)
	v_pk_add_f16 v5, v2, v4 neg_lo:[0,1] neg_hi:[0,1]
	v_pk_add_f16 v2, v2, v4
	v_bfi_b32 v4, 0xffff, v5, v2
	v_bfi_b32 v2, 0xffff, v2, v5
	v_pk_mul_f16 v4, v4, 0.5 op_sel_hi:[1,0]
	v_pk_mul_f16 v2, v2, 0.5 op_sel_hi:[1,0]
	s_waitcnt vmcnt(1)
	v_pk_mul_f16 v6, v3, v4 op_sel_hi:[0,1]
	v_pk_fma_f16 v5, v3, v4, v2 op_sel:[1,0,0]
	v_pk_fma_f16 v7, v3, v4, v2 op_sel:[1,0,0] neg_lo:[1,0,0] neg_hi:[1,0,0]
	v_pk_fma_f16 v2, v3, v4, v2 op_sel:[1,0,0] neg_lo:[0,0,1] neg_hi:[0,0,1]
	v_pk_add_f16 v3, v5, v6 op_sel:[0,1] op_sel_hi:[1,0]
	v_pk_add_f16 v4, v5, v6 op_sel:[0,1] op_sel_hi:[1,0] neg_lo:[0,1] neg_hi:[0,1]
	v_pk_add_f16 v5, v7, v6 op_sel:[0,1] op_sel_hi:[1,0] neg_lo:[0,1] neg_hi:[0,1]
	;; [unrolled: 1-line block ×3, first 2 shown]
	v_bfi_b32 v3, 0xffff, v3, v4
	v_bfi_b32 v2, 0xffff, v5, v2
	ds_write_b32 v40, v3 offset:4680
	ds_write_b32 v0, v2 offset:6120
	ds_read_b32 v2, v40 offset:5040
	ds_read_b32 v3, v0 offset:5760
	s_waitcnt lgkmcnt(0)
	v_pk_add_f16 v4, v2, v3 neg_lo:[0,1] neg_hi:[0,1]
	v_pk_add_f16 v2, v2, v3
	v_bfi_b32 v3, 0xffff, v4, v2
	v_bfi_b32 v2, 0xffff, v2, v4
	v_pk_mul_f16 v3, v3, 0.5 op_sel_hi:[1,0]
	v_pk_mul_f16 v2, v2, 0.5 op_sel_hi:[1,0]
	s_waitcnt vmcnt(0)
	v_pk_fma_f16 v4, v1, v3, v2 op_sel:[1,0,0]
	v_pk_mul_f16 v5, v1, v3 op_sel_hi:[0,1]
	v_pk_fma_f16 v6, v1, v3, v2 op_sel:[1,0,0] neg_lo:[1,0,0] neg_hi:[1,0,0]
	v_pk_fma_f16 v1, v1, v3, v2 op_sel:[1,0,0] neg_lo:[0,0,1] neg_hi:[0,0,1]
	v_pk_add_f16 v2, v4, v5 op_sel:[0,1] op_sel_hi:[1,0]
	v_pk_add_f16 v3, v4, v5 op_sel:[0,1] op_sel_hi:[1,0] neg_lo:[0,1] neg_hi:[0,1]
	v_pk_add_f16 v4, v6, v5 op_sel:[0,1] op_sel_hi:[1,0] neg_lo:[0,1] neg_hi:[0,1]
	;; [unrolled: 1-line block ×3, first 2 shown]
	v_bfi_b32 v2, 0xffff, v2, v3
	v_bfi_b32 v1, 0xffff, v4, v1
	ds_write_b32 v40, v2 offset:5040
	ds_write_b32 v0, v1 offset:5760
	s_waitcnt lgkmcnt(0)
	s_barrier
	buffer_gl0_inv
	s_and_saveexec_b32 s0, vcc_lo
	s_cbranch_execz .LBB0_20
; %bb.18:
	v_add_nc_u32_e32 v0, 0x200, v40
	ds_read2_b32 v[2:3], v40 offset1:90
	v_add_nc_u32_e32 v8, 0x400, v40
	v_mov_b32_e32 v25, v27
	v_add_nc_u32_e32 v10, 0x800, v40
	ds_read2_b32 v[4:5], v0 offset0:52 offset1:142
	v_add_nc_u32_e32 v12, 0xa00, v40
	ds_read2_b32 v[8:9], v8 offset0:104 offset1:194
	ds_read2_b32 v[10:11], v10 offset0:28 offset1:118
	;; [unrolled: 1-line block ×3, first 2 shown]
	v_lshlrev_b64 v[6:7], 2, v[24:25]
	v_add_co_u32 v0, vcc_lo, s2, v28
	v_add_co_ci_u32_e32 v1, vcc_lo, s3, v29, vcc_lo
	v_add_nc_u32_e32 v14, 0xc00, v40
	v_add_co_u32 v6, vcc_lo, v0, v6
	v_add_co_ci_u32_e32 v7, vcc_lo, v1, v7, vcc_lo
	v_add_nc_u32_e32 v16, 0x1000, v40
	ds_read2_b32 v[14:15], v14 offset0:132 offset1:222
	ds_read2_b32 v[16:17], v16 offset0:56 offset1:146
	s_waitcnt lgkmcnt(6)
	global_store_dword v[6:7], v2, off
	global_store_dword v[6:7], v3, off offset:360
	s_waitcnt lgkmcnt(5)
	global_store_dword v[6:7], v4, off offset:720
	v_add_nc_u32_e32 v4, 0x1200, v40
	v_add_co_u32 v2, vcc_lo, 0x800, v6
	v_add_co_ci_u32_e32 v3, vcc_lo, 0, v7, vcc_lo
	global_store_dword v[6:7], v5, off offset:1080
	s_waitcnt lgkmcnt(4)
	global_store_dword v[6:7], v8, off offset:1440
	global_store_dword v[6:7], v9, off offset:1800
	ds_read2_b32 v[4:5], v4 offset0:108 offset1:198
	s_waitcnt lgkmcnt(4)
	global_store_dword v[2:3], v10, off offset:112
	global_store_dword v[2:3], v11, off offset:472
	s_waitcnt lgkmcnt(3)
	global_store_dword v[2:3], v12, off offset:832
	global_store_dword v[2:3], v13, off offset:1192
	v_add_nc_u32_e32 v10, 0x1400, v40
	v_add_co_u32 v8, vcc_lo, 0x1000, v6
	v_add_nc_u32_e32 v12, 0x1800, v40
	v_add_co_ci_u32_e32 v9, vcc_lo, 0, v7, vcc_lo
	ds_read2_b32 v[10:11], v10 offset0:160 offset1:250
	s_waitcnt lgkmcnt(3)
	global_store_dword v[2:3], v14, off offset:1552
	global_store_dword v[2:3], v15, off offset:1912
	s_waitcnt lgkmcnt(2)
	global_store_dword v[8:9], v16, off offset:224
	ds_read2_b32 v[2:3], v12 offset0:84 offset1:174
	v_add_nc_u32_e32 v12, 0x1c00, v40
	v_add_nc_u32_e32 v14, 0x1e00, v40
	;; [unrolled: 1-line block ×3, first 2 shown]
	global_store_dword v[8:9], v17, off offset:584
	v_add_nc_u32_e32 v18, 0x2400, v40
	ds_read2_b32 v[12:13], v12 offset0:8 offset1:98
	s_waitcnt lgkmcnt(3)
	global_store_dword v[8:9], v4, off offset:944
	global_store_dword v[8:9], v5, off offset:1304
	ds_read2_b32 v[4:5], v14 offset0:60 offset1:150
	ds_read2_b32 v[14:15], v15 offset0:112 offset1:202
	v_add_nc_u32_e32 v20, 0x2600, v40
	ds_read2_b32 v[18:19], v18 offset0:36 offset1:126
	v_add_co_u32 v16, vcc_lo, 0x1800, v6
	v_add_co_ci_u32_e32 v17, vcc_lo, 0, v7, vcc_lo
	s_waitcnt lgkmcnt(5)
	global_store_dword v[8:9], v10, off offset:1664
	global_store_dword v[8:9], v11, off offset:2024
	ds_read2_b32 v[8:9], v20 offset0:88 offset1:178
	v_add_co_u32 v10, vcc_lo, 0x2000, v6
	v_add_co_ci_u32_e32 v11, vcc_lo, 0, v7, vcc_lo
	s_waitcnt lgkmcnt(5)
	global_store_dword v[16:17], v2, off offset:336
	v_add_co_u32 v2, vcc_lo, 0x2800, v6
	global_store_dword v[16:17], v3, off offset:696
	s_waitcnt lgkmcnt(4)
	global_store_dword v[16:17], v12, off offset:1056
	global_store_dword v[16:17], v13, off offset:1416
	s_waitcnt lgkmcnt(3)
	global_store_dword v[16:17], v4, off offset:1776
	;; [unrolled: 3-line block ×3, first 2 shown]
	global_store_dword v[10:11], v15, off offset:808
	v_add_co_ci_u32_e32 v3, vcc_lo, 0, v7, vcc_lo
	v_cmp_eq_u32_e32 vcc_lo, 0x59, v24
	s_waitcnt lgkmcnt(1)
	global_store_dword v[10:11], v18, off offset:1168
	global_store_dword v[10:11], v19, off offset:1528
	s_waitcnt lgkmcnt(0)
	global_store_dword v[10:11], v8, off offset:1888
	global_store_dword v[2:3], v9, off offset:200
	s_and_b32 exec_lo, exec_lo, vcc_lo
	s_cbranch_execz .LBB0_20
; %bb.19:
	v_mov_b32_e32 v2, 0
	v_add_co_u32 v0, vcc_lo, 0x2800, v0
	v_add_co_ci_u32_e32 v1, vcc_lo, 0, v1, vcc_lo
	ds_read_b32 v2, v2 offset:10800
	s_waitcnt lgkmcnt(0)
	global_store_dword v[0:1], v2, off offset:560
.LBB0_20:
	s_endpgm
	.section	.rodata,"a",@progbits
	.p2align	6, 0x0
	.amdhsa_kernel fft_rtc_back_len2700_factors_3_10_10_3_3_wgs_90_tpt_90_halfLds_half_ip_CI_unitstride_sbrr_R2C_dirReg
		.amdhsa_group_segment_fixed_size 0
		.amdhsa_private_segment_fixed_size 0
		.amdhsa_kernarg_size 88
		.amdhsa_user_sgpr_count 6
		.amdhsa_user_sgpr_private_segment_buffer 1
		.amdhsa_user_sgpr_dispatch_ptr 0
		.amdhsa_user_sgpr_queue_ptr 0
		.amdhsa_user_sgpr_kernarg_segment_ptr 1
		.amdhsa_user_sgpr_dispatch_id 0
		.amdhsa_user_sgpr_flat_scratch_init 0
		.amdhsa_user_sgpr_private_segment_size 0
		.amdhsa_wavefront_size32 1
		.amdhsa_uses_dynamic_stack 0
		.amdhsa_system_sgpr_private_segment_wavefront_offset 0
		.amdhsa_system_sgpr_workgroup_id_x 1
		.amdhsa_system_sgpr_workgroup_id_y 0
		.amdhsa_system_sgpr_workgroup_id_z 0
		.amdhsa_system_sgpr_workgroup_info 0
		.amdhsa_system_vgpr_workitem_id 0
		.amdhsa_next_free_vgpr 126
		.amdhsa_next_free_sgpr 21
		.amdhsa_reserve_vcc 1
		.amdhsa_reserve_flat_scratch 0
		.amdhsa_float_round_mode_32 0
		.amdhsa_float_round_mode_16_64 0
		.amdhsa_float_denorm_mode_32 3
		.amdhsa_float_denorm_mode_16_64 3
		.amdhsa_dx10_clamp 1
		.amdhsa_ieee_mode 1
		.amdhsa_fp16_overflow 0
		.amdhsa_workgroup_processor_mode 1
		.amdhsa_memory_ordered 1
		.amdhsa_forward_progress 0
		.amdhsa_shared_vgpr_count 0
		.amdhsa_exception_fp_ieee_invalid_op 0
		.amdhsa_exception_fp_denorm_src 0
		.amdhsa_exception_fp_ieee_div_zero 0
		.amdhsa_exception_fp_ieee_overflow 0
		.amdhsa_exception_fp_ieee_underflow 0
		.amdhsa_exception_fp_ieee_inexact 0
		.amdhsa_exception_int_div_zero 0
	.end_amdhsa_kernel
	.text
.Lfunc_end0:
	.size	fft_rtc_back_len2700_factors_3_10_10_3_3_wgs_90_tpt_90_halfLds_half_ip_CI_unitstride_sbrr_R2C_dirReg, .Lfunc_end0-fft_rtc_back_len2700_factors_3_10_10_3_3_wgs_90_tpt_90_halfLds_half_ip_CI_unitstride_sbrr_R2C_dirReg
                                        ; -- End function
	.section	.AMDGPU.csdata,"",@progbits
; Kernel info:
; codeLenInByte = 21948
; NumSgprs: 23
; NumVgprs: 126
; ScratchSize: 0
; MemoryBound: 0
; FloatMode: 240
; IeeeMode: 1
; LDSByteSize: 0 bytes/workgroup (compile time only)
; SGPRBlocks: 2
; VGPRBlocks: 15
; NumSGPRsForWavesPerEU: 23
; NumVGPRsForWavesPerEU: 126
; Occupancy: 8
; WaveLimiterHint : 1
; COMPUTE_PGM_RSRC2:SCRATCH_EN: 0
; COMPUTE_PGM_RSRC2:USER_SGPR: 6
; COMPUTE_PGM_RSRC2:TRAP_HANDLER: 0
; COMPUTE_PGM_RSRC2:TGID_X_EN: 1
; COMPUTE_PGM_RSRC2:TGID_Y_EN: 0
; COMPUTE_PGM_RSRC2:TGID_Z_EN: 0
; COMPUTE_PGM_RSRC2:TIDIG_COMP_CNT: 0
	.text
	.p2alignl 6, 3214868480
	.fill 48, 4, 3214868480
	.type	__hip_cuid_bae7bddb57369454,@object ; @__hip_cuid_bae7bddb57369454
	.section	.bss,"aw",@nobits
	.globl	__hip_cuid_bae7bddb57369454
__hip_cuid_bae7bddb57369454:
	.byte	0                               ; 0x0
	.size	__hip_cuid_bae7bddb57369454, 1

	.ident	"AMD clang version 19.0.0git (https://github.com/RadeonOpenCompute/llvm-project roc-6.4.0 25133 c7fe45cf4b819c5991fe208aaa96edf142730f1d)"
	.section	".note.GNU-stack","",@progbits
	.addrsig
	.addrsig_sym __hip_cuid_bae7bddb57369454
	.amdgpu_metadata
---
amdhsa.kernels:
  - .args:
      - .actual_access:  read_only
        .address_space:  global
        .offset:         0
        .size:           8
        .value_kind:     global_buffer
      - .offset:         8
        .size:           8
        .value_kind:     by_value
      - .actual_access:  read_only
        .address_space:  global
        .offset:         16
        .size:           8
        .value_kind:     global_buffer
      - .actual_access:  read_only
        .address_space:  global
        .offset:         24
        .size:           8
        .value_kind:     global_buffer
      - .offset:         32
        .size:           8
        .value_kind:     by_value
      - .actual_access:  read_only
        .address_space:  global
        .offset:         40
        .size:           8
        .value_kind:     global_buffer
      - .actual_access:  read_only
        .address_space:  global
        .offset:         48
        .size:           8
        .value_kind:     global_buffer
      - .offset:         56
        .size:           4
        .value_kind:     by_value
      - .actual_access:  read_only
        .address_space:  global
        .offset:         64
        .size:           8
        .value_kind:     global_buffer
      - .actual_access:  read_only
        .address_space:  global
        .offset:         72
        .size:           8
        .value_kind:     global_buffer
      - .address_space:  global
        .offset:         80
        .size:           8
        .value_kind:     global_buffer
    .group_segment_fixed_size: 0
    .kernarg_segment_align: 8
    .kernarg_segment_size: 88
    .language:       OpenCL C
    .language_version:
      - 2
      - 0
    .max_flat_workgroup_size: 90
    .name:           fft_rtc_back_len2700_factors_3_10_10_3_3_wgs_90_tpt_90_halfLds_half_ip_CI_unitstride_sbrr_R2C_dirReg
    .private_segment_fixed_size: 0
    .sgpr_count:     23
    .sgpr_spill_count: 0
    .symbol:         fft_rtc_back_len2700_factors_3_10_10_3_3_wgs_90_tpt_90_halfLds_half_ip_CI_unitstride_sbrr_R2C_dirReg.kd
    .uniform_work_group_size: 1
    .uses_dynamic_stack: false
    .vgpr_count:     126
    .vgpr_spill_count: 0
    .wavefront_size: 32
    .workgroup_processor_mode: 1
amdhsa.target:   amdgcn-amd-amdhsa--gfx1030
amdhsa.version:
  - 1
  - 2
...

	.end_amdgpu_metadata
